;; amdgpu-corpus repo=ROCm/aiter kind=harvested arch=n/a opt=n/a

/root/src/amdgpu-assembly/repos/ROCm__aiter/hsa/gfx950/fmoe_2stages/fmoe_stage1_bf16_pertokenFp8_blockscale_g1u1_64x128_2tg_pf2.co:	file format elf64-amdgpu

Disassembly of section .text:

0000000000002a00 <_ZN5aiter59fmoe_stage1_bf16_pertokenFp8_blockscale_g1u1_64x128_2tg_pf2E>:
	s_and_b32 s1, s1, 0xffff                                   // 000000002A00: 8601FF01 0000FFFF
	s_load_dwordx2 s[8:9], s[0:1], 0x0                         // 000000002A08: C0060200 00000000
	s_load_dwordx2 s[20:21], s[0:1], 0x10                      // 000000002A10: C0060500 00000010
	s_load_dwordx2 s[24:25], s[0:1], 0x20                      // 000000002A18: C0060600 00000020
	s_load_dwordx2 s[48:49], s[0:1], 0x30                      // 000000002A20: C0060C00 00000030
	s_load_dwordx2 s[28:29], s[0:1], 0x40                      // 000000002A28: C0060700 00000040
	s_load_dwordx2 s[32:33], s[0:1], 0x50                      // 000000002A30: C0060800 00000050
	s_load_dwordx2 s[36:37], s[0:1], 0x60                      // 000000002A38: C0060900 00000060
	s_load_dwordx2 s[12:13], s[0:1], 0x70                      // 000000002A40: C0060300 00000070
	s_load_dwordx2 s[44:45], s[0:1], 0x80                      // 000000002A48: C0060B00 00000080
	s_mov_b32 s89, 0                                           // 000000002A50: BED90080
	s_load_dword s64, s[0:1], 0x90                             // 000000002A54: C0021000 00000090
	s_load_dword s65, s[0:1], 0xa0                             // 000000002A5C: C0021040 000000A0
	s_load_dword s66, s[0:1], 0xb0                             // 000000002A64: C0021080 000000B0
	s_load_dword s67, s[0:1], 0xc0                             // 000000002A6C: C00210C0 000000C0
	s_load_dword s68, s[0:1], 0xd0                             // 000000002A74: C0021100 000000D0
	s_load_dword s69, s[0:1], 0xe0                             // 000000002A7C: C0021140 000000E0
	s_load_dword s71, s[0:1], 0xf0                             // 000000002A84: C00211C0 000000F0
	s_load_dword s72, s[0:1], 0x100                            // 000000002A8C: C0021200 00000100
	s_load_dword s74, s[0:1], 0x110                            // 000000002A94: C0021280 00000110
	s_load_dword s76, s[0:1], 0x120                            // 000000002A9C: C0021300 00000120
	s_load_dword s56, s[0:1], 0x130                            // 000000002AA4: C0020E00 00000130
	s_load_dword s88, s[0:1], 0x140                            // 000000002AAC: C0021600 00000140
	s_load_dword s89, s[0:1], 0x150                            // 000000002AB4: C0021640 00000150
	v_lshrrev_b32_e32 v1, 10, v0                               // 000000002ABC: 2002008A
	v_lshrrev_b32_e32 v2, 10, v1                               // 000000002AC0: 2004028A
	v_and_b32_e32 v2, 0x3ff, v2                                // 000000002AC4: 260404FF 000003FF
	v_and_b32_e32 v1, 0x3ff, v1                                // 000000002ACC: 260202FF 000003FF
	v_and_b32_e32 v0, 0x3ff, v0                                // 000000002AD4: 260000FF 000003FF
	v_lshrrev_b32_e32 v3, 6, v0                                // 000000002ADC: 20060086
	v_and_b32_e32 v0, 63, v0                                   // 000000002AE0: 260000BF
	s_mov_b32 s2, s2                                           // 000000002AE4: BE820002
	s_mov_b32 s3, s3                                           // 000000002AE8: BE830003
	s_mov_b32 s4, s4                                           // 000000002AEC: BE840004
	v_readfirstlane_b32 s7, v3                                 // 000000002AF0: 7E0E0503
	s_waitcnt lgkmcnt(0)                                       // 000000002AF4: BF8CC07F
	s_and_b32 s49, s49, 0xffff                                 // 000000002AF8: 8631FF31 0000FFFF
	s_load_dword s48, s[48:49], 0x0                            // 000000002B00: C0020C18 00000000
	s_and_b32 s45, s45, 0xffff                                 // 000000002B08: 862DFF2D 0000FFFF
	s_and_b32 s9, s9, 0xffff                                   // 000000002B10: 8609FF09 0000FFFF
	s_mul_i32 s60, s66, s68                                    // 000000002B18: 923C4442
	s_mul_i32 s61, s66, 4                                      // 000000002B1C: 923D8442
	s_mov_b32 s22, s60                                         // 000000002B20: BE96003C
	s_mov_b32 s26, -16                                         // 000000002B24: BE9A00D0
	s_mov_b32 s30, s61                                         // 000000002B28: BE9E003D
	s_mov_b32 s14, 0x100                                       // 000000002B2C: BE8E00FF 00000100
	s_mov_b32 s38, -16                                         // 000000002B34: BEA600D0
	s_mov_b32 s10, -16                                         // 000000002B38: BE8A00D0
	s_lshr_b32 s60, s64, 7                                     // 000000002B3C: 8F3C8740
	s_mul_i32 s61, s60, 4                                      // 000000002B40: 923D843C
	s_lshr_b32 s60, s65, 7                                     // 000000002B44: 8F3C8741
	s_add_u32 s60, s60, 1                                      // 000000002B48: 803C813C
	s_mul_i32 s60, s60, s61                                    // 000000002B4C: 923C3D3C
	s_mov_b32 s34, s60                                         // 000000002B50: BEA2003C
	s_mov_b32 s23, 0x20000                                     // 000000002B54: BE9700FF 00020000
	s_mov_b32 s27, 0x20000                                     // 000000002B5C: BE9B00FF 00020000
	s_mov_b32 s31, 0x20000                                     // 000000002B64: BE9F00FF 00020000
	s_mov_b32 s35, 0x20000                                     // 000000002B6C: BEA300FF 00020000
	s_mov_b32 s15, 0x20000                                     // 000000002B74: BE8F00FF 00020000
	s_mov_b32 s39, 0x20000                                     // 000000002B7C: BEA700FF 00020000
	s_mov_b32 s11, 0x20000                                     // 000000002B84: BE8B00FF 00020000
	s_and_b32 s21, s21, 0xffff                                 // 000000002B8C: 8615FF15 0000FFFF
	s_and_b32 s25, s25, 0xffff                                 // 000000002B94: 8619FF19 0000FFFF
	s_and_b32 s29, s29, 0xffff                                 // 000000002B9C: 861DFF1D 0000FFFF
	s_and_b32 s33, s33, 0xffff                                 // 000000002BA4: 8621FF21 0000FFFF
	s_and_b32 s13, s13, 0xffff                                 // 000000002BAC: 860DFF0D 0000FFFF
	s_and_b32 s37, s37, 0xffff                                 // 000000002BB4: 8625FF25 0000FFFF
	s_or_b32 s21, s21, 0x40000                                 // 000000002BBC: 8715FF15 00040000
	s_or_b32 s25, s25, 0x40000                                 // 000000002BC4: 8719FF19 00040000
	s_or_b32 s29, s29, 0x40000                                 // 000000002BCC: 871DFF1D 00040000
	s_or_b32 s33, s33, 0x40000                                 // 000000002BD4: 8721FF21 00040000
	s_or_b32 s13, s13, 0x40000                                 // 000000002BDC: 870DFF0D 00040000
	s_or_b32 s37, s37, 0x40000                                 // 000000002BE4: 8725FF25 00040000
	v_accvgpr_write_b32 a95, 0                                 // 000000002BEC: D3D9405F 18000080
	v_mov_b32_e32 v119, 0                                      // 000000002BF4: 7EEE0280
	s_waitcnt lgkmcnt(0)                                       // 000000002BF8: BF8CC07F
	s_mul_i32 s60, s3, 64                                      // 000000002BFC: 923CC003
	s_cmp_lt_i32 s60, s48                                      // 000000002C00: BF04303C
	s_cbranch_scc0 label_1BC2                                  // 000000002C04: BF841B3D
	s_mov_b32 s80, 0                                           // 000000002C08: BED00080
	s_lshr_b32 s81, s64, s88                                   // 000000002C0C: 8F515840
	s_mul_i32 s60, s3, 4                                       // 000000002C10: 923C8403
	s_add_u32 s44, s60, s44                                    // 000000002C14: 802C2C3C
	s_addc_u32 s45, 0, s45                                     // 000000002C18: 822D2D80
	s_load_dword s5, s[44:45], 0x0                             // 000000002C1C: C0020156 00000000
	s_mul_i32 s60, s3, 64                                      // 000000002C24: 923CC003
	s_mul_i32 s60, 4, s60                                      // 000000002C28: 923C3C84
	s_add_u32 s12, s60, s12                                    // 000000002C2C: 800C0C3C
	s_addc_u32 s13, 0, s13                                     // 000000002C30: 820D0D80
	v_and_b32_e32 v4, 15, v0                                   // 000000002C34: 2608008F
	v_lshlrev_b32_e32 v4, 2, v4                                // 000000002C38: 24080882
	buffer_load_dword v28, v4, s[12:15], 0 offen               // 000000002C3C: E0501000 80031C04
	v_add_u32_e32 v4, 64, v4                                   // 000000002C44: 680808C0
	buffer_load_dword v29, v4, s[12:15], 0 offen               // 000000002C48: E0501000 80031D04
	v_add_u32_e32 v4, 64, v4                                   // 000000002C50: 680808C0
	buffer_load_dword v30, v4, s[12:15], 0 offen               // 000000002C54: E0501000 80031E04
	v_add_u32_e32 v4, 64, v4                                   // 000000002C5C: 680808C0
	buffer_load_dword v31, v4, s[12:15], 0 offen               // 000000002C60: E0501000 80031F04
	v_add_u32_e32 v4, 64, v4                                   // 000000002C68: 680808C0
	s_mul_i32 s60, 4, s7                                       // 000000002C6C: 923C0784
	v_lshlrev_b32_e32 v4, 4, v0                                // 000000002C70: 24080084
	v_add_u32_e32 v4, s60, v4                                  // 000000002C74: 6808083C
	buffer_load_dword v3, v4, s[12:15], 0 offen                // 000000002C78: E0501000 80030304
	v_mov_b32_e32 v56, 0                                       // 000000002C80: 7E700280
	v_mov_b32_e32 v88, 0                                       // 000000002C84: 7EB00280
	v_mov_b32_e32 v57, 0                                       // 000000002C88: 7E720280
	v_mov_b32_e32 v89, 0                                       // 000000002C8C: 7EB20280
	v_mov_b32_e32 v58, 0                                       // 000000002C90: 7E740280
	v_mov_b32_e32 v90, 0                                       // 000000002C94: 7EB40280
	v_mov_b32_e32 v59, 0                                       // 000000002C98: 7E760280
	v_mov_b32_e32 v91, 0                                       // 000000002C9C: 7EB60280
	v_mov_b32_e32 v60, 0                                       // 000000002CA0: 7E780280
	v_mov_b32_e32 v92, 0                                       // 000000002CA4: 7EB80280
	v_mov_b32_e32 v61, 0                                       // 000000002CA8: 7E7A0280
	v_mov_b32_e32 v93, 0                                       // 000000002CAC: 7EBA0280
	v_mov_b32_e32 v62, 0                                       // 000000002CB0: 7E7C0280
	v_mov_b32_e32 v94, 0                                       // 000000002CB4: 7EBC0280
	v_mov_b32_e32 v63, 0                                       // 000000002CB8: 7E7E0280
	v_mov_b32_e32 v95, 0                                       // 000000002CBC: 7EBE0280
	v_mov_b32_e32 v64, 0                                       // 000000002CC0: 7E800280
	v_mov_b32_e32 v96, 0                                       // 000000002CC4: 7EC00280
	v_mov_b32_e32 v65, 0                                       // 000000002CC8: 7E820280
	v_mov_b32_e32 v97, 0                                       // 000000002CCC: 7EC20280
	v_mov_b32_e32 v66, 0                                       // 000000002CD0: 7E840280
	v_mov_b32_e32 v98, 0                                       // 000000002CD4: 7EC40280
	v_mov_b32_e32 v67, 0                                       // 000000002CD8: 7E860280
	v_mov_b32_e32 v99, 0                                       // 000000002CDC: 7EC60280
	v_mov_b32_e32 v68, 0                                       // 000000002CE0: 7E880280
	v_mov_b32_e32 v100, 0                                      // 000000002CE4: 7EC80280
	v_mov_b32_e32 v69, 0                                       // 000000002CE8: 7E8A0280
	v_mov_b32_e32 v101, 0                                      // 000000002CEC: 7ECA0280
	v_mov_b32_e32 v70, 0                                       // 000000002CF0: 7E8C0280
	v_mov_b32_e32 v102, 0                                      // 000000002CF4: 7ECC0280
	v_mov_b32_e32 v71, 0                                       // 000000002CF8: 7E8E0280
	v_mov_b32_e32 v103, 0                                      // 000000002CFC: 7ECE0280
	v_mov_b32_e32 v72, 0                                       // 000000002D00: 7E900280
	v_mov_b32_e32 v104, 0                                      // 000000002D04: 7ED00280
	v_mov_b32_e32 v73, 0                                       // 000000002D08: 7E920280
	v_mov_b32_e32 v105, 0                                      // 000000002D0C: 7ED20280
	v_mov_b32_e32 v74, 0                                       // 000000002D10: 7E940280
	v_mov_b32_e32 v106, 0                                      // 000000002D14: 7ED40280
	v_mov_b32_e32 v75, 0                                       // 000000002D18: 7E960280
	v_mov_b32_e32 v107, 0                                      // 000000002D1C: 7ED60280
	v_mov_b32_e32 v76, 0                                       // 000000002D20: 7E980280
	v_mov_b32_e32 v108, 0                                      // 000000002D24: 7ED80280
	v_mov_b32_e32 v77, 0                                       // 000000002D28: 7E9A0280
	v_mov_b32_e32 v109, 0                                      // 000000002D2C: 7EDA0280
	v_mov_b32_e32 v78, 0                                       // 000000002D30: 7E9C0280
	v_mov_b32_e32 v110, 0                                      // 000000002D34: 7EDC0280
	v_mov_b32_e32 v79, 0                                       // 000000002D38: 7E9E0280
	v_mov_b32_e32 v111, 0                                      // 000000002D3C: 7EDE0280
	v_mov_b32_e32 v80, 0                                       // 000000002D40: 7EA00280
	v_mov_b32_e32 v112, 0                                      // 000000002D44: 7EE00280
	v_mov_b32_e32 v81, 0                                       // 000000002D48: 7EA20280
	v_mov_b32_e32 v113, 0                                      // 000000002D4C: 7EE20280
	v_mov_b32_e32 v82, 0                                       // 000000002D50: 7EA40280
	v_mov_b32_e32 v114, 0                                      // 000000002D54: 7EE40280
	v_mov_b32_e32 v83, 0                                       // 000000002D58: 7EA60280
	v_mov_b32_e32 v115, 0                                      // 000000002D5C: 7EE60280
	v_mov_b32_e32 v84, 0                                       // 000000002D60: 7EA80280
	v_mov_b32_e32 v116, 0                                      // 000000002D64: 7EE80280
	v_mov_b32_e32 v85, 0                                       // 000000002D68: 7EAA0280
	v_mov_b32_e32 v117, 0                                      // 000000002D6C: 7EEA0280
	v_mov_b32_e32 v86, 0                                       // 000000002D70: 7EAC0280
	v_mov_b32_e32 v118, 0                                      // 000000002D74: 7EEC0280
	v_mov_b32_e32 v87, 0                                       // 000000002D78: 7EAE0280
	v_mov_b32_e32 v119, 0                                      // 000000002D7C: 7EEE0280
	s_mul_i32 s60, s2, 0x80                                    // 000000002D80: 923CFF02 00000080
	s_cmp_eq_u32 s88, 0                                        // 000000002D88: BF068058
	s_cselect_b32 s61, 1, 4                                    // 000000002D8C: 853D8481
	s_mul_i32 s60, s60, s61                                    // 000000002D90: 923C3D3C
	s_mov_b32 s90, s8                                          // 000000002D94: BEDA0008
	s_mov_b32 s91, s9                                          // 000000002D98: BEDB0009
	s_add_u32 s8, s60, s8                                      // 000000002D9C: 8008083C
	s_addc_u32 s9, 0, s9                                       // 000000002DA0: 82090980
	v_lshrrev_b32_e32 v4, 4, v0                                // 000000002DA4: 20080084
	v_mul_lo_u32 v20, 34, v4                                   // 000000002DA8: D2850014 000208A2
	v_and_b32_e32 v4, 15, v0                                   // 000000002DB0: 2608008F
	v_mul_lo_u32 v5, 2, v4                                     // 000000002DB4: D2850005 00020882
	v_add_u32_e32 v20, v5, v20                                 // 000000002DBC: 68282905
	s_mul_i32 s60, s7, 0x88                                    // 000000002DC0: 923CFF07 00000088
	v_add_u32_e32 v20, s60, v20                                // 000000002DC8: 6828283C
	v_lshlrev_b32_e32 v20, 2, v20                              // 000000002DCC: 24282882
	v_and_b32_e32 v4, 31, v0                                   // 000000002DD0: 2608009F
	v_lshrrev_b32_e32 v4, 1, v4                                // 000000002DD4: 20080881
	v_mul_lo_u32 v21, 34, v4                                   // 000000002DD8: D2850015 000208A2
	v_lshrrev_b32_e32 v4, 5, v0                                // 000000002DE0: 20080085
	v_mul_lo_u32 v4, 8, v4                                     // 000000002DE4: D2850004 00020888
	v_add_u32_e32 v21, v21, v4                                 // 000000002DEC: 682A0915
	v_and_b32_e32 v5, 1, v0                                    // 000000002DF0: 260A0081
	v_add_u32_e32 v21, v5, v21                                 // 000000002DF4: 682A2B05
	s_mul_i32 s60, s7, 2                                       // 000000002DF8: 923C8207
	v_add_u32_e32 v21, s60, v21                                // 000000002DFC: 682A2A3C
	v_lshlrev_b32_e32 v21, 2, v21                              // 000000002E00: 242A2A82
	s_mul_i32 s60, s7, 0x820                                   // 000000002E04: 923CFF07 00000820
	s_add_u32 s48, 0, s60                                      // 000000002E0C: 80303C80
	s_add_u32 s49, 0x2080, s48                                 // 000000002E10: 803130FF 00002080
	v_lshrrev_b32_e32 v4, 4, v0                                // 000000002E18: 20080084
	v_lshlrev_b32_e32 v5, 2, v4                                // 000000002E1C: 240A0882
	v_and_b32_e32 v4, 15, v0                                   // 000000002E20: 2608008F
	v_lshrrev_b32_e32 v6, 2, v4                                // 000000002E24: 200C0882
	v_lshlrev_b32_e32 v6, 5, v6                                // 000000002E28: 240C0C85
	v_add_u32_e32 v5, v6, v5                                   // 000000002E2C: 680A0B06
	v_and_b32_e32 v4, 3, v0                                    // 000000002E30: 26080083
	v_mul_u32_u24_e32 v6, 0x208, v4                            // 000000002E34: 100C08FF 00000208
	v_add_u32_e32 v5, v6, v5                                   // 000000002E3C: 680A0B06
	v_lshlrev_b32_e32 v2, 2, v5                                // 000000002E40: 24040A82
	s_waitcnt lgkmcnt(0)                                       // 000000002E44: BF8CC07F
	s_mul_i32 s60, s2, 0x80                                    // 000000002E48: 923CFF02 00000080
	s_mul_i32 s60, s60, s69                                    // 000000002E50: 923C453C
	s_mul_i32 s61, s5, s72                                     // 000000002E54: 923D4805
	s_add_u32 s60, s61, s60                                    // 000000002E58: 803C3C3D
	s_add_u32 s24, s60, s24                                    // 000000002E5C: 8018183C
	s_addc_u32 s25, 0, s25                                     // 000000002E60: 82191980
	s_lshr_b32 s60, s64, s88                                   // 000000002E64: 8F3C5840
	s_mul_i32 s60, s4, s60                                     // 000000002E68: 923C3C04
	s_lshr_b32 s60, s60, 7                                     // 000000002E6C: 8F3C873C
	s_mul_i32 s60, s60, 0x800                                  // 000000002E70: 923CFF3C 00000800
	s_add_u32 s24, s60, s24                                    // 000000002E78: 8018183C
	s_addc_u32 s25, 0, s25                                     // 000000002E7C: 82191980
	s_lshr_b32 s60, s69, s88                                   // 000000002E80: 8F3C5845
	s_mul_i32 s60, s4, s60                                     // 000000002E84: 923C3C04
	s_add_u32 s20, s60, s20                                    // 000000002E88: 8014143C
	s_addc_u32 s21, 0, s21                                     // 000000002E8C: 82151580
	s_mul_i32 s60, s7, 16                                      // 000000002E90: 923C9007
	s_mul_i32 s60, s60, s69                                    // 000000002E94: 923C453C
	v_lshlrev_b32_e32 v52, 4, v0                               // 000000002E98: 24680084
	v_add_u32_e32 v52, s60, v52                                // 000000002E9C: 6868683C
	s_mul_i32 s60, 64, s69                                     // 000000002EA0: 923C45C0
	v_add_u32_e32 v53, s60, v52                                // 000000002EA4: 686A683C
	s_mov_b32 s84, s24                                         // 000000002EA8: BED40018
	s_mov_b32 s85, s25                                         // 000000002EAC: BED50019
	s_mov_b32 s86, s26                                         // 000000002EB0: BED6001A
	s_mov_b32 s87, s27                                         // 000000002EB4: BED7001B
	s_mul_i32 s60, s69, s65                                    // 000000002EB8: 923C4145
	s_add_u32 s84, s60, s84                                    // 000000002EBC: 8054543C
	s_addc_u32 s85, 0, s85                                     // 000000002EC0: 82555580
	s_lshr_b32 s60, s64, 7                                     // 000000002EC4: 8F3C8740
	s_mul_i32 s61, s60, 4                                      // 000000002EC8: 923D843C
	v_and_b32_e32 v22, 15, v0                                  // 000000002ECC: 262C008F
	v_mul_lo_u32 v22, v22, s61                                 // 000000002ED0: D2850016 00007B16
	s_lshr_b32 s60, s65, 7                                     // 000000002ED8: 8F3C8741
	s_mul_i32 s60, s60, s61                                    // 000000002EDC: 923C3D3C
	v_add_u32_e64 v23, v22, s60                                // 000000002EE0: D1340017 00007916
	s_mul_i32 s60, s2, 1                                       // 000000002EE8: 923C8102
	s_mul_i32 s60, s60, s61                                    // 000000002EEC: 923C3D3C
	s_mul_i32 s61, s5, s74                                     // 000000002EF0: 923D4A05
	s_add_u32 s61, s61, s60                                    // 000000002EF4: 803D3C3D
	s_add_u32 s32, s61, s32                                    // 000000002EF8: 8020203D
	s_addc_u32 s33, 0, s33                                     // 000000002EFC: 82212180
	s_lshr_b32 s60, s64, 7                                     // 000000002F00: 8F3C8740
	s_lshr_b32 s60, s60, s88                                   // 000000002F04: 8F3C583C
	s_mul_i32 s60, s4, s60                                     // 000000002F08: 923C3C04
	s_mul_i32 s61, s60, 4                                      // 000000002F0C: 923D843C
	s_add_u32 s32, s61, s32                                    // 000000002F10: 8020203D
	s_addc_u32 s33, 0, s33                                     // 000000002F14: 82212180
	s_lshl_b32 s62, s66, 2                                     // 000000002F18: 8E3E8242
	s_mul_i32 s62, s60, s62                                    // 000000002F1C: 923E3E3C
	s_add_u32 s28, s62, s28                                    // 000000002F20: 801C1C3E
	s_addc_u32 s29, 0, s29                                     // 000000002F24: 821D1D80
	s_mov_b32 s4, 4                                            // 000000002F28: BE840084
	s_mov_b32 s57, 0x80                                        // 000000002F2C: BEB900FF 00000080
	s_mov_b32 s58, 0x800                                       // 000000002F34: BEBA00FF 00000800
	s_mov_b32 s83, s58                                         // 000000002F3C: BED3003A
	s_mov_b32 s52, 0x7060302                                   // 000000002F40: BEB400FF 07060302
	s_mov_b32 s53, 0x400                                       // 000000002F48: BEB500FF 00000400
	s_mov_b32 s54, 0x40100                                     // 000000002F50: BEB600FF 00040100
	s_mov_b32 s55, 0x4020100                                   // 000000002F58: BEB700FF 04020100
	s_mov_b32 s6, 0x3fb8aa3b                                   // 000000002F60: BE8600FF 3FB8AA3B
	s_mov_b32 s78, 0xbd92220c                                  // 000000002F68: BECE00FF BD92220C
	s_mov_b32 s79, 0xbd92220c                                  // 000000002F70: BECF00FF BD92220C
	s_mov_b32 m0, s48                                          // 000000002F78: BEFC0030
	v_mov_b32_e32 v1, 0xbfcc4231                               // 000000002F7C: 7E0202FF BFCC4231
	v_mov_b32_e32 v17, 0xffff0000                              // 000000002F84: 7E2202FF FFFF0000
	v_mov_b32_e32 v18, 0x7fff0000                              // 000000002F8C: 7E2402FF 7FFF0000
	v_mov_b32_e32 v19, 0x7fff                                  // 000000002F94: 7E2602FF 00007FFF
	s_waitcnt vmcnt(0) expcnt(0) lgkmcnt(0)                    // 000000002F9C: BF8C0000
	v_lshrrev_b32_e32 v4, 5, v0                                // 000000002FA0: 20080085
	v_xor_b32_e32 v5, 1, v4                                    // 000000002FA4: 2A0A0881
	v_readlane_b32 s82, v3, 0                                  // 000000002FA8: D2890052 00010103
	s_and_b32 s82, s82, 0xffffff                               // 000000002FB0: 8652FF52 00FFFFFF
	v_mul_lo_u32 v6, v5, s82                                   // 000000002FB8: D2850006 0000A505
	v_readlane_b32 s82, v3, 1                                  // 000000002FC0: D2890052 00010303
	s_and_b32 s82, s82, 0xffffff                               // 000000002FC8: 8652FF52 00FFFFFF
	v_mul_lo_u32 v7, v4, s82                                   // 000000002FD0: D2850007 0000A504
	v_add_u32_e32 v44, v6, v7                                  // 000000002FD8: 68580F06
	v_mul_lo_u32 v44, v44, s68                                 // 000000002FDC: D285002C 0000892C
	v_readlane_b32 s82, v3, 2                                  // 000000002FE4: D2890052 00010503
	s_and_b32 s82, s82, 0xffffff                               // 000000002FEC: 8652FF52 00FFFFFF
	v_mul_lo_u32 v6, v5, s82                                   // 000000002FF4: D2850006 0000A505
	v_readlane_b32 s82, v3, 3                                  // 000000002FFC: D2890052 00010703
	s_and_b32 s82, s82, 0xffffff                               // 000000003004: 8652FF52 00FFFFFF
	v_mul_lo_u32 v7, v4, s82                                   // 00000000300C: D2850007 0000A504
	v_add_u32_e32 v45, v6, v7                                  // 000000003014: 685A0F06
	v_mul_lo_u32 v45, v45, s68                                 // 000000003018: D285002D 0000892D
	v_readlane_b32 s82, v3, 4                                  // 000000003020: D2890052 00010903
	s_and_b32 s82, s82, 0xffffff                               // 000000003028: 8652FF52 00FFFFFF
	v_mul_lo_u32 v6, v5, s82                                   // 000000003030: D2850006 0000A505
	v_readlane_b32 s82, v3, 5                                  // 000000003038: D2890052 00010B03
	s_and_b32 s82, s82, 0xffffff                               // 000000003040: 8652FF52 00FFFFFF
	v_mul_lo_u32 v7, v4, s82                                   // 000000003048: D2850007 0000A504
	v_add_u32_e32 v46, v6, v7                                  // 000000003050: 685C0F06
	v_mul_lo_u32 v46, v46, s68                                 // 000000003054: D285002E 0000892E
	v_readlane_b32 s82, v3, 6                                  // 00000000305C: D2890052 00010D03
	s_and_b32 s82, s82, 0xffffff                               // 000000003064: 8652FF52 00FFFFFF
	v_mul_lo_u32 v6, v5, s82                                   // 00000000306C: D2850006 0000A505
	v_readlane_b32 s82, v3, 7                                  // 000000003074: D2890052 00010F03
	s_and_b32 s82, s82, 0xffffff                               // 00000000307C: 8652FF52 00FFFFFF
	v_mul_lo_u32 v7, v4, s82                                   // 000000003084: D2850007 0000A504
	v_add_u32_e32 v47, v6, v7                                  // 00000000308C: 685E0F06
	v_mul_lo_u32 v47, v47, s68                                 // 000000003090: D285002F 0000892F
	v_readlane_b32 s82, v3, 8                                  // 000000003098: D2890052 00011103
	s_and_b32 s82, s82, 0xffffff                               // 0000000030A0: 8652FF52 00FFFFFF
	v_mul_lo_u32 v6, v5, s82                                   // 0000000030A8: D2850006 0000A505
	v_readlane_b32 s82, v3, 9                                  // 0000000030B0: D2890052 00011303
	s_and_b32 s82, s82, 0xffffff                               // 0000000030B8: 8652FF52 00FFFFFF
	v_mul_lo_u32 v7, v4, s82                                   // 0000000030C0: D2850007 0000A504
	v_add_u32_e32 v48, v6, v7                                  // 0000000030C8: 68600F06
	v_mul_lo_u32 v48, v48, s68                                 // 0000000030CC: D2850030 00008930
	v_readlane_b32 s82, v3, 10                                 // 0000000030D4: D2890052 00011503
	s_and_b32 s82, s82, 0xffffff                               // 0000000030DC: 8652FF52 00FFFFFF
	v_mul_lo_u32 v6, v5, s82                                   // 0000000030E4: D2850006 0000A505
	v_readlane_b32 s82, v3, 11                                 // 0000000030EC: D2890052 00011703
	s_and_b32 s82, s82, 0xffffff                               // 0000000030F4: 8652FF52 00FFFFFF
	v_mul_lo_u32 v7, v4, s82                                   // 0000000030FC: D2850007 0000A504
	v_add_u32_e32 v49, v6, v7                                  // 000000003104: 68620F06
	v_mul_lo_u32 v49, v49, s68                                 // 000000003108: D2850031 00008931
	v_readlane_b32 s82, v3, 12                                 // 000000003110: D2890052 00011903
	s_and_b32 s82, s82, 0xffffff                               // 000000003118: 8652FF52 00FFFFFF
	v_mul_lo_u32 v6, v5, s82                                   // 000000003120: D2850006 0000A505
	v_readlane_b32 s82, v3, 13                                 // 000000003128: D2890052 00011B03
	s_and_b32 s82, s82, 0xffffff                               // 000000003130: 8652FF52 00FFFFFF
	v_mul_lo_u32 v7, v4, s82                                   // 000000003138: D2850007 0000A504
	v_add_u32_e32 v50, v6, v7                                  // 000000003140: 68640F06
	v_mul_lo_u32 v50, v50, s68                                 // 000000003144: D2850032 00008932
	v_readlane_b32 s82, v3, 14                                 // 00000000314C: D2890052 00011D03
	s_and_b32 s82, s82, 0xffffff                               // 000000003154: 8652FF52 00FFFFFF
	v_mul_lo_u32 v6, v5, s82                                   // 00000000315C: D2850006 0000A505
	v_readlane_b32 s82, v3, 15                                 // 000000003164: D2890052 00011F03
	s_and_b32 s82, s82, 0xffffff                               // 00000000316C: 8652FF52 00FFFFFF
	v_mul_lo_u32 v7, v4, s82                                   // 000000003174: D2850007 0000A504
	v_add_u32_e32 v51, v6, v7                                  // 00000000317C: 68660F06
	v_mul_lo_u32 v51, v51, s68                                 // 000000003180: D2850033 00008933
	v_and_b32_e32 v4, 31, v0                                   // 000000003188: 2608009F
	v_lshlrev_b32_e32 v4, 2, v4                                // 00000000318C: 24080882
	v_add_u32_e32 v44, v44, v4                                 // 000000003190: 6858092C
	v_add_u32_e32 v45, v45, v4                                 // 000000003194: 685A092D
	v_add_u32_e32 v46, v46, v4                                 // 000000003198: 685C092E
	v_add_u32_e32 v47, v47, v4                                 // 00000000319C: 685E092F
	v_add_u32_e32 v48, v48, v4                                 // 0000000031A0: 68600930
	v_add_u32_e32 v49, v49, v4                                 // 0000000031A4: 68620931
	v_add_u32_e32 v50, v50, v4                                 // 0000000031A8: 68640932
	v_add_u32_e32 v51, v51, v4                                 // 0000000031AC: 68660933
	v_and_b32_e32 v28, 0xffffff, v28                           // 0000000031B0: 263838FF 00FFFFFF
	v_lshlrev_b32_e32 v28, 2, v28                              // 0000000031B8: 24383882
	v_and_b32_e32 v29, 0xffffff, v29                           // 0000000031BC: 263A3AFF 00FFFFFF
	v_lshlrev_b32_e32 v29, 2, v29                              // 0000000031C4: 243A3A82
	v_and_b32_e32 v30, 0xffffff, v30                           // 0000000031C8: 263C3CFF 00FFFFFF
	v_lshlrev_b32_e32 v30, 2, v30                              // 0000000031D0: 243C3C82
	v_and_b32_e32 v31, 0xffffff, v31                           // 0000000031D4: 263E3EFF 00FFFFFF
	v_lshlrev_b32_e32 v31, 2, v31                              // 0000000031DC: 243E3E82
	s_lshl_b32 s3, s66, 2                                      // 0000000031E0: 8E038242
	buffer_load_dword v44, s[20:23], 0 offen lds               // 0000000031E4: E0511000 8005002C
	s_add_u32 m0, 0x100, s48                                   // 0000000031EC: 807C30FF 00000100
	buffer_load_dword v45, s[20:23], 0 offen lds               // 0000000031F4: E0511000 8005002D
	s_add_u32 m0, 0x200, s48                                   // 0000000031FC: 807C30FF 00000200
	buffer_load_dword v46, s[20:23], 0 offen lds               // 000000003204: E0511000 8005002E
	s_add_u32 m0, 0x300, s48                                   // 00000000320C: 807C30FF 00000300
	buffer_load_dword v47, s[20:23], 0 offen lds               // 000000003214: E0511000 8005002F
	s_add_u32 m0, 0x400, s48                                   // 00000000321C: 807C30FF 00000400
	buffer_load_dword v48, s[20:23], 0 offen lds               // 000000003224: E0511000 80050030
	s_add_u32 m0, 0x500, s48                                   // 00000000322C: 807C30FF 00000500
	buffer_load_dword v49, s[20:23], 0 offen lds               // 000000003234: E0511000 80050031
	s_add_u32 m0, 0x600, s48                                   // 00000000323C: 807C30FF 00000600
	buffer_load_dword v50, s[20:23], 0 offen lds               // 000000003244: E0511000 80050032
	s_add_u32 m0, 0x700, s48                                   // 00000000324C: 807C30FF 00000700
	buffer_load_dword v51, s[20:23], 0 offen lds               // 000000003254: E0511000 80050033
	s_add_u32 m0, 0, s49                                       // 00000000325C: 807C3180
	s_add_u32 s20, s57, s20                                    // 000000003260: 80141439
	s_addc_u32 s21, 0, s21                                     // 000000003264: 82151580
	buffer_load_dword v32, v28, s[28:31], 0 offen              // 000000003268: E0501000 8007201C
	buffer_load_dword v33, v29, s[28:31], 0 offen              // 000000003270: E0501000 8007211D
	buffer_load_dword v34, v30, s[28:31], 0 offen              // 000000003278: E0501000 8007221E
	buffer_load_dword v35, v31, s[28:31], 0 offen              // 000000003280: E0501000 8007231F
	s_add_u32 s28, s3, s28                                     // 000000003288: 801C1C03
	s_addc_u32 s29, 0, s29                                     // 00000000328C: 821D1D80
	buffer_load_dword v44, s[20:23], 0 offen lds               // 000000003290: E0511000 8005002C
	s_add_u32 m0, 0x100, s49                                   // 000000003298: 807C31FF 00000100
	buffer_load_dword v45, s[20:23], 0 offen lds               // 0000000032A0: E0511000 8005002D
	s_add_u32 m0, 0x200, s49                                   // 0000000032A8: 807C31FF 00000200
	buffer_load_dword v46, s[20:23], 0 offen lds               // 0000000032B0: E0511000 8005002E
	s_add_u32 m0, 0x300, s49                                   // 0000000032B8: 807C31FF 00000300
	buffer_load_dword v47, s[20:23], 0 offen lds               // 0000000032C0: E0511000 8005002F
	s_add_u32 m0, 0x400, s49                                   // 0000000032C8: 807C31FF 00000400
	buffer_load_dword v48, s[20:23], 0 offen lds               // 0000000032D0: E0511000 80050030
	s_add_u32 m0, 0x500, s49                                   // 0000000032D8: 807C31FF 00000500
	buffer_load_dword v49, s[20:23], 0 offen lds               // 0000000032E0: E0511000 80050031
	s_add_u32 m0, 0x600, s49                                   // 0000000032E8: 807C31FF 00000600
	buffer_load_dword v50, s[20:23], 0 offen lds               // 0000000032F0: E0511000 80050032
	s_add_u32 m0, 0x700, s49                                   // 0000000032F8: 807C31FF 00000700
	buffer_load_dword v51, s[20:23], 0 offen lds               // 000000003300: E0511000 80050033
	s_add_u32 m0, 0, s48                                       // 000000003308: 807C3080
	s_add_u32 s20, s57, s20                                    // 00000000330C: 80141439
	s_addc_u32 s21, 0, s21                                     // 000000003310: 82151580
	buffer_load_dword v36, v28, s[28:31], 0 offen              // 000000003314: E0501000 8007241C
	buffer_load_dword v37, v29, s[28:31], 0 offen              // 00000000331C: E0501000 8007251D
	buffer_load_dword v38, v30, s[28:31], 0 offen              // 000000003324: E0501000 8007261E
	buffer_load_dword v39, v31, s[28:31], 0 offen              // 00000000332C: E0501000 8007271F
	s_add_u32 s28, s3, s28                                     // 000000003334: 801C1C03
	s_addc_u32 s29, 0, s29                                     // 000000003338: 821D1D80
	buffer_load_dword v24, v22, s[32:35], 0 offen              // 00000000333C: E0501000 80081816
	buffer_load_dwordx4 a[64:67], v52, s[24:27], 0 offen       // 000000003344: E05C1000 80864034
	buffer_load_dwordx4 a[68:71], v52, s[24:27], 0 offen offset:1024// 00000000334C: E05C1400 80864434
	buffer_load_dwordx4 a[72:75], v53, s[24:27], 0 offen       // 000000003354: E05C1000 80864835
	buffer_load_dwordx4 a[76:79], v53, s[24:27], 0 offen offset:1024// 00000000335C: E05C1400 80864C35
	s_add_u32 s24, s58, s24                                    // 000000003364: 8018183A
	s_addc_u32 s25, 0, s25                                     // 000000003368: 82191980
	s_waitcnt vmcnt(21)                                        // 00000000336C: BF8C4F75
	s_barrier                                                  // 000000003370: BF8A0000
	ds_read_b128 a[0:3], v2                                    // 000000003374: DBFE0000 00000002
	ds_read_b128 a[4:7], v2 offset:64                          // 00000000337C: DBFE0040 04000002
	ds_read_b128 a[8:11], v2 offset:512                        // 000000003384: DBFE0200 08000002
	ds_read_b128 a[12:15], v2 offset:576                       // 00000000338C: DBFE0240 0C000002
	ds_read_b128 a[16:19], v2 offset:1024                      // 000000003394: DBFE0400 10000002
	ds_read_b128 a[20:23], v2 offset:1088                      // 00000000339C: DBFE0440 14000002
	ds_read_b128 a[24:27], v2 offset:1536                      // 0000000033A4: DBFE0600 18000002
	ds_read_b128 a[28:31], v2 offset:1600                      // 0000000033AC: DBFE0640 1C000002
	s_cmp_lt_i32 s7, 2                                         // 0000000033B4: BF048207
	s_cbranch_scc0 label_0F1A                                  // 0000000033B8: BF840CA8

00000000000033bc <label_026F>:
	s_waitcnt vmcnt(2) lgkmcnt(0)                              // 0000000033BC: BF8C0072
	s_barrier                                                  // 0000000033C0: BF8A0000
	v_mov_b32_e32 v40, v32                                     // 0000000033C4: 7E500320
	v_mov_b32_e32 v41, v33                                     // 0000000033C8: 7E520321
	v_mov_b32_e32 v42, v34                                     // 0000000033CC: 7E540322
	v_mov_b32_e32 v43, v35                                     // 0000000033D0: 7E560323
	v_mul_f32_dpp v4, v24, v40 row_newbcast:0 row_mask:0xf bank_mask:0xf// 0000000033D4: 0A0850FA FF015018
	v_mfma_f32_16x16x32_fp8_fp8 v[8:11], a[64:65], a[0:1], 0   // 0000000033DC: D3F30008 1A020140
	buffer_load_dword v27, v23, s[32:35], 0 offen              // 0000000033E4: E0501000 80081B17
	v_mfma_f32_16x16x32_fp8_fp8 v[8:11], a[66:67], a[2:3], v[8:11]// 0000000033EC: D3F30008 1C220542
	buffer_load_dwordx4 a[80:83], v52, s[84:87], 0 offen       // 0000000033F4: E05C1000 80955034
	v_mfma_f32_16x16x32_fp8_fp8 v[8:11], a[68:69], a[4:5], v[8:11]// 0000000033FC: D3F30008 1C220944
	v_mfma_f32_16x16x32_fp8_fp8 v[8:11], a[70:71], a[6:7], v[8:11]// 000000003404: D3F30008 1C220D46
	v_mul_f32_dpp v6, v24, v41 row_newbcast:0 row_mask:0xf bank_mask:0xf// 00000000340C: 0A0C52FA FF015018
	v_mfma_f32_16x16x32_fp8_fp8 v[12:15], a[64:65], a[8:9], 0  // 000000003414: D3F3000C 1A021140
	v_mfma_f32_16x16x32_fp8_fp8 v[12:15], a[66:67], a[10:11], v[12:15]// 00000000341C: D3F3000C 1C321542
	buffer_load_dwordx4 a[84:87], v52, s[84:87], 0 offen offset:1024// 000000003424: E05C1400 80955434
	v_mfma_f32_16x16x32_fp8_fp8 v[12:15], a[68:69], a[12:13], v[12:15]// 00000000342C: D3F3000C 1C321944
	v_mfma_f32_16x16x32_fp8_fp8 v[12:15], a[70:71], a[14:15], v[12:15]// 000000003434: D3F3000C 1C321D46
	v_fma_f32 v56, v8, v4, v56                                 // 00000000343C: D1CB0038 04E20908
	v_fma_f32 v57, v9, v4, v57                                 // 000000003444: D1CB0039 04E60909
	v_fma_f32 v58, v10, v4, v58                                // 00000000344C: D1CB003A 04EA090A
	v_fma_f32 v59, v11, v4, v59                                // 000000003454: D1CB003B 04EE090B
	v_mul_f32_dpp v4, v24, v42 row_newbcast:0 row_mask:0xf bank_mask:0xf// 00000000345C: 0A0854FA FF015018
	v_mfma_f32_16x16x32_fp8_fp8 v[8:11], a[64:65], a[16:17], 0 // 000000003464: D3F30008 1A022140
	v_mfma_f32_16x16x32_fp8_fp8 v[8:11], a[66:67], a[18:19], v[8:11]// 00000000346C: D3F30008 1C222542
	buffer_load_dwordx4 a[88:91], v53, s[84:87], 0 offen       // 000000003474: E05C1000 80955835
	v_mfma_f32_16x16x32_fp8_fp8 v[8:11], a[68:69], a[20:21], v[8:11]// 00000000347C: D3F30008 1C222944
	v_mfma_f32_16x16x32_fp8_fp8 v[8:11], a[70:71], a[22:23], v[8:11]// 000000003484: D3F30008 1C222D46
	v_fma_f32 v60, v12, v6, v60                                // 00000000348C: D1CB003C 04F20D0C
	v_fma_f32 v61, v13, v6, v61                                // 000000003494: D1CB003D 04F60D0D
	v_fma_f32 v62, v14, v6, v62                                // 00000000349C: D1CB003E 04FA0D0E
	v_fma_f32 v63, v15, v6, v63                                // 0000000034A4: D1CB003F 04FE0D0F
	v_mul_f32_dpp v6, v24, v43 row_newbcast:0 row_mask:0xf bank_mask:0xf// 0000000034AC: 0A0C56FA FF015018
	v_mfma_f32_16x16x32_fp8_fp8 v[12:15], a[64:65], a[24:25], 0// 0000000034B4: D3F3000C 1A023140
	v_mfma_f32_16x16x32_fp8_fp8 v[12:15], a[66:67], a[26:27], v[12:15]// 0000000034BC: D3F3000C 1C323542
	buffer_load_dwordx4 a[92:95], v53, s[84:87], 0 offen offset:1024// 0000000034C4: E05C1400 80955C35
	buffer_load_dword v44, s[20:23], 0 offen lds               // 0000000034CC: E0511000 8005002C
	s_add_u32 m0, 0x100, s48                                   // 0000000034D4: 807C30FF 00000100
	v_mfma_f32_16x16x32_fp8_fp8 v[12:15], a[68:69], a[28:29], v[12:15]// 0000000034DC: D3F3000C 1C323944
	v_mfma_f32_16x16x32_fp8_fp8 v[12:15], a[70:71], a[30:31], v[12:15]// 0000000034E4: D3F3000C 1C323D46
	buffer_load_dword v45, s[20:23], 0 offen lds               // 0000000034EC: E0511000 8005002D
	s_add_u32 m0, 0x200, s48                                   // 0000000034F4: 807C30FF 00000200
	v_fma_f32 v64, v8, v4, v64                                 // 0000000034FC: D1CB0040 05020908
	v_fma_f32 v65, v9, v4, v65                                 // 000000003504: D1CB0041 05060909
	v_fma_f32 v66, v10, v4, v66                                // 00000000350C: D1CB0042 050A090A
	v_fma_f32 v67, v11, v4, v67                                // 000000003514: D1CB0043 050E090B
	s_waitcnt vmcnt(7)                                         // 00000000351C: BF8C0F77
	v_mul_f32_dpp v4, v24, v40 row_newbcast:0 row_mask:0xf bank_mask:0xf// 000000003520: 0A0850FA FF015018
	v_mfma_f32_16x16x32_fp8_fp8 v[8:11], a[72:73], a[0:1], 0   // 000000003528: D3F30008 1A020148
	v_mfma_f32_16x16x32_fp8_fp8 v[8:11], a[74:75], a[2:3], v[8:11]// 000000003530: D3F30008 1C22054A
	buffer_load_dword v46, s[20:23], 0 offen lds               // 000000003538: E0511000 8005002E
	s_add_u32 m0, 0x300, s48                                   // 000000003540: 807C30FF 00000300
	v_mfma_f32_16x16x32_fp8_fp8 v[8:11], a[76:77], a[4:5], v[8:11]// 000000003548: D3F30008 1C22094C
	v_mfma_f32_16x16x32_fp8_fp8 v[8:11], a[78:79], a[6:7], v[8:11]// 000000003550: D3F30008 1C220D4E
	buffer_load_dword v47, s[20:23], 0 offen lds               // 000000003558: E0511000 8005002F
	s_add_u32 m0, 0x400, s48                                   // 000000003560: 807C30FF 00000400
	v_fma_f32 v68, v12, v6, v68                                // 000000003568: D1CB0044 05120D0C
	v_fma_f32 v69, v13, v6, v69                                // 000000003570: D1CB0045 05160D0D
	v_fma_f32 v70, v14, v6, v70                                // 000000003578: D1CB0046 051A0D0E
	v_fma_f32 v71, v15, v6, v71                                // 000000003580: D1CB0047 051E0D0F
	v_mul_f32_dpp v6, v24, v41 row_newbcast:0 row_mask:0xf bank_mask:0xf// 000000003588: 0A0C52FA FF015018
	v_mfma_f32_16x16x32_fp8_fp8 v[12:15], a[72:73], a[8:9], 0  // 000000003590: D3F3000C 1A021148
	v_mfma_f32_16x16x32_fp8_fp8 v[12:15], a[74:75], a[10:11], v[12:15]// 000000003598: D3F3000C 1C32154A
	buffer_load_dword v48, s[20:23], 0 offen lds               // 0000000035A0: E0511000 80050030
	s_add_u32 m0, 0x500, s48                                   // 0000000035A8: 807C30FF 00000500
	v_mfma_f32_16x16x32_fp8_fp8 v[12:15], a[76:77], a[12:13], v[12:15]// 0000000035B0: D3F3000C 1C32194C
	v_mfma_f32_16x16x32_fp8_fp8 v[12:15], a[78:79], a[14:15], v[12:15]// 0000000035B8: D3F3000C 1C321D4E
	buffer_load_dword v49, s[20:23], 0 offen lds               // 0000000035C0: E0511000 80050031
	s_add_u32 m0, 0x600, s48                                   // 0000000035C8: 807C30FF 00000600
	v_fma_f32 v72, v8, v4, v72                                 // 0000000035D0: D1CB0048 05220908
	v_fma_f32 v73, v9, v4, v73                                 // 0000000035D8: D1CB0049 05260909
	v_fma_f32 v74, v10, v4, v74                                // 0000000035E0: D1CB004A 052A090A
	v_fma_f32 v75, v11, v4, v75                                // 0000000035E8: D1CB004B 052E090B
	v_mul_f32_dpp v4, v24, v42 row_newbcast:0 row_mask:0xf bank_mask:0xf// 0000000035F0: 0A0854FA FF015018
	v_mfma_f32_16x16x32_fp8_fp8 v[8:11], a[72:73], a[16:17], 0 // 0000000035F8: D3F30008 1A022148
	v_mfma_f32_16x16x32_fp8_fp8 v[8:11], a[74:75], a[18:19], v[8:11]// 000000003600: D3F30008 1C22254A
	buffer_load_dword v50, s[20:23], 0 offen lds               // 000000003608: E0511000 80050032
	s_add_u32 m0, 0x700, s48                                   // 000000003610: 807C30FF 00000700
	v_mfma_f32_16x16x32_fp8_fp8 v[8:11], a[76:77], a[20:21], v[8:11]// 000000003618: D3F30008 1C22294C
	v_mfma_f32_16x16x32_fp8_fp8 v[8:11], a[78:79], a[22:23], v[8:11]// 000000003620: D3F30008 1C222D4E
	buffer_load_dword v51, s[20:23], 0 offen lds               // 000000003628: E0511000 80050033
	s_add_u32 m0, 0, s49                                       // 000000003630: 807C3180
	v_fma_f32 v76, v12, v6, v76                                // 000000003634: D1CB004C 05320D0C
	v_fma_f32 v77, v13, v6, v77                                // 00000000363C: D1CB004D 05360D0D
	v_fma_f32 v78, v14, v6, v78                                // 000000003644: D1CB004E 053A0D0E
	v_fma_f32 v79, v15, v6, v79                                // 00000000364C: D1CB004F 053E0D0F
	v_mul_f32_dpp v6, v24, v43 row_newbcast:0 row_mask:0xf bank_mask:0xf// 000000003654: 0A0C56FA FF015018
	v_mfma_f32_16x16x32_fp8_fp8 v[12:15], a[72:73], a[24:25], 0// 00000000365C: D3F3000C 1A023148
	v_mfma_f32_16x16x32_fp8_fp8 v[12:15], a[74:75], a[26:27], v[12:15]// 000000003664: D3F3000C 1C32354A
	buffer_load_dword v32, v28, s[28:31], 0 offen              // 00000000366C: E0501000 8007201C
	s_add_u32 s60, 0x80, s80                                   // 000000003674: 803C50FF 00000080
	s_cmp_lt_u32 s60, s81                                      // 00000000367C: BF0A513C
	s_cselect_b32 s83, s83, 0                                  // 000000003680: 85538053
	s_cselect_b32 s4, s4, 0                                    // 000000003684: 85048004
	v_mfma_f32_16x16x32_fp8_fp8 v[12:15], a[76:77], a[28:29], v[12:15]// 000000003688: D3F3000C 1C32394C
	s_add_u32 s32, s4, s32                                     // 000000003690: 80202004
	s_addc_u32 s33, 0, s33                                     // 000000003694: 82212180
	v_mfma_f32_16x16x32_fp8_fp8 v[12:15], a[78:79], a[30:31], v[12:15]// 000000003698: D3F3000C 1C323D4E
	buffer_load_dword v33, v29, s[28:31], 0 offen              // 0000000036A0: E0501000 8007211D
	v_fma_f32 v80, v8, v4, v80                                 // 0000000036A8: D1CB0050 05420908
	v_fma_f32 v81, v9, v4, v81                                 // 0000000036B0: D1CB0051 05460909
	v_fma_f32 v82, v10, v4, v82                                // 0000000036B8: D1CB0052 054A090A
	v_fma_f32 v83, v11, v4, v83                                // 0000000036C0: D1CB0053 054E090B
	v_fma_f32 v84, v12, v6, v84                                // 0000000036C8: D1CB0054 05520D0C
	v_fma_f32 v85, v13, v6, v85                                // 0000000036D0: D1CB0055 05560D0D
	v_fma_f32 v86, v14, v6, v86                                // 0000000036D8: D1CB0056 055A0D0E
	v_fma_f32 v87, v15, v6, v87                                // 0000000036E0: D1CB0057 055E0D0F
	buffer_load_dword v34, v30, s[28:31], 0 offen              // 0000000036E8: E0501000 8007221E
	buffer_load_dword v35, v31, s[28:31], 0 offen              // 0000000036F0: E0501000 8007231F
	s_waitcnt vmcnt(12)                                        // 0000000036F8: BF8C0F7C
	v_mul_f32_dpp v4, v27, v40 row_newbcast:0 row_mask:0xf bank_mask:0xf// 0000000036FC: 0A0850FA FF01501B
	v_mfma_f32_16x16x32_fp8_fp8 v[8:11], a[80:81], a[0:1], 0   // 000000003704: D3F30008 1A020150
	buffer_load_dword v24, v22, s[32:35], 0 offen              // 00000000370C: E0501000 80081816
	v_mfma_f32_16x16x32_fp8_fp8 v[8:11], a[82:83], a[2:3], v[8:11]// 000000003714: D3F30008 1C220552
	buffer_load_dwordx4 a[64:67], v52, s[24:27], 0 offen       // 00000000371C: E05C1000 80864034
	v_mfma_f32_16x16x32_fp8_fp8 v[8:11], a[84:85], a[4:5], v[8:11]// 000000003724: D3F30008 1C220954
	v_mfma_f32_16x16x32_fp8_fp8 v[8:11], a[86:87], a[6:7], v[8:11]// 00000000372C: D3F30008 1C220D56
	ds_read_b128 a[32:35], v2 offset:8320                      // 000000003734: DBFE2080 20000002
	ds_read_b128 a[36:39], v2 offset:8384                      // 00000000373C: DBFE20C0 24000002
	v_mfma_f32_16x16x32_fp8_fp8 v[12:15], a[88:89], a[0:1], 0  // 000000003744: D3F3000C 1A020158
	v_mfma_f32_16x16x32_fp8_fp8 v[12:15], a[90:91], a[2:3], v[12:15]// 00000000374C: D3F3000C 1C32055A
	buffer_load_dwordx4 a[68:71], v52, s[24:27], 0 offen offset:1024// 000000003754: E05C1400 80864434
	v_mfma_f32_16x16x32_fp8_fp8 v[12:15], a[92:93], a[4:5], v[12:15]// 00000000375C: D3F3000C 1C32095C
	v_mfma_f32_16x16x32_fp8_fp8 v[12:15], a[94:95], a[6:7], v[12:15]// 000000003764: D3F3000C 1C320D5E
	ds_read_b128 a[40:43], v2 offset:8832                      // 00000000376C: DBFE2280 28000002
	ds_read_b128 a[44:47], v2 offset:8896                      // 000000003774: DBFE22C0 2C000002
	v_fma_f32 v88, v8, v4, v88                                 // 00000000377C: D1CB0058 05620908
	v_fma_f32 v89, v9, v4, v89                                 // 000000003784: D1CB0059 05660909
	v_fma_f32 v90, v10, v4, v90                                // 00000000378C: D1CB005A 056A090A
	v_fma_f32 v91, v11, v4, v91                                // 000000003794: D1CB005B 056E090B
	v_mul_f32_dpp v6, v27, v41 row_newbcast:0 row_mask:0xf bank_mask:0xf// 00000000379C: 0A0C52FA FF01501B
	v_mfma_f32_16x16x32_fp8_fp8 v[8:11], a[80:81], a[8:9], 0   // 0000000037A4: D3F30008 1A021150
	v_mfma_f32_16x16x32_fp8_fp8 v[8:11], a[82:83], a[10:11], v[8:11]// 0000000037AC: D3F30008 1C221552
	buffer_load_dwordx4 a[72:75], v53, s[24:27], 0 offen       // 0000000037B4: E05C1000 80864835
	v_mfma_f32_16x16x32_fp8_fp8 v[8:11], a[84:85], a[12:13], v[8:11]// 0000000037BC: D3F30008 1C221954
	v_mfma_f32_16x16x32_fp8_fp8 v[8:11], a[86:87], a[14:15], v[8:11]// 0000000037C4: D3F30008 1C221D56
	ds_read_b128 a[48:51], v2 offset:9344                      // 0000000037CC: DBFE2480 30000002
	ds_read_b128 a[52:55], v2 offset:9408                      // 0000000037D4: DBFE24C0 34000002
	v_fma_f32 v104, v12, v4, v104                              // 0000000037DC: D1CB0068 05A2090C
	v_fma_f32 v105, v13, v4, v105                              // 0000000037E4: D1CB0069 05A6090D
	v_fma_f32 v106, v14, v4, v106                              // 0000000037EC: D1CB006A 05AA090E
	v_fma_f32 v107, v15, v4, v107                              // 0000000037F4: D1CB006B 05AE090F
	v_mfma_f32_16x16x32_fp8_fp8 v[12:15], a[88:89], a[8:9], 0  // 0000000037FC: D3F3000C 1A021158
	v_mfma_f32_16x16x32_fp8_fp8 v[12:15], a[90:91], a[10:11], v[12:15]// 000000003804: D3F3000C 1C32155A
	buffer_load_dwordx4 a[76:79], v53, s[24:27], 0 offen offset:1024// 00000000380C: E05C1400 80864C35
	v_mfma_f32_16x16x32_fp8_fp8 v[12:15], a[92:93], a[12:13], v[12:15]// 000000003814: D3F3000C 1C32195C
	v_mfma_f32_16x16x32_fp8_fp8 v[12:15], a[94:95], a[14:15], v[12:15]// 00000000381C: D3F3000C 1C321D5E
	ds_read_b128 a[56:59], v2 offset:9856                      // 000000003824: DBFE2680 38000002
	ds_read_b128 a[60:63], v2 offset:9920                      // 00000000382C: DBFE26C0 3C000002
	v_fma_f32 v92, v8, v6, v92                                 // 000000003834: D1CB005C 05720D08
	v_fma_f32 v93, v9, v6, v93                                 // 00000000383C: D1CB005D 05760D09
	v_fma_f32 v94, v10, v6, v94                                // 000000003844: D1CB005E 057A0D0A
	v_fma_f32 v95, v11, v6, v95                                // 00000000384C: D1CB005F 057E0D0B
	v_mul_f32_dpp v4, v27, v42 row_newbcast:0 row_mask:0xf bank_mask:0xf// 000000003854: 0A0854FA FF01501B
	v_mfma_f32_16x16x32_fp8_fp8 v[8:11], a[80:81], a[16:17], 0 // 00000000385C: D3F30008 1A022150
	v_mfma_f32_16x16x32_fp8_fp8 v[8:11], a[82:83], a[18:19], v[8:11]// 000000003864: D3F30008 1C222552
	v_mfma_f32_16x16x32_fp8_fp8 v[8:11], a[84:85], a[20:21], v[8:11]// 00000000386C: D3F30008 1C222954
	v_mfma_f32_16x16x32_fp8_fp8 v[8:11], a[86:87], a[22:23], v[8:11]// 000000003874: D3F30008 1C222D56
	v_fma_f32 v108, v12, v6, v108                              // 00000000387C: D1CB006C 05B20D0C
	v_fma_f32 v109, v13, v6, v109                              // 000000003884: D1CB006D 05B60D0D
	v_fma_f32 v110, v14, v6, v110                              // 00000000388C: D1CB006E 05BA0D0E
	v_fma_f32 v111, v15, v6, v111                              // 000000003894: D1CB006F 05BE0D0F
	v_mfma_f32_16x16x32_fp8_fp8 v[12:15], a[88:89], a[16:17], 0// 00000000389C: D3F3000C 1A022158
	v_mfma_f32_16x16x32_fp8_fp8 v[12:15], a[90:91], a[18:19], v[12:15]// 0000000038A4: D3F3000C 1C32255A
	v_mfma_f32_16x16x32_fp8_fp8 v[12:15], a[92:93], a[20:21], v[12:15]// 0000000038AC: D3F3000C 1C32295C
	v_mfma_f32_16x16x32_fp8_fp8 v[12:15], a[94:95], a[22:23], v[12:15]// 0000000038B4: D3F3000C 1C322D5E
	v_fma_f32 v96, v8, v4, v96                                 // 0000000038BC: D1CB0060 05820908
	v_fma_f32 v97, v9, v4, v97                                 // 0000000038C4: D1CB0061 05860909
	v_fma_f32 v98, v10, v4, v98                                // 0000000038CC: D1CB0062 058A090A
	v_fma_f32 v99, v11, v4, v99                                // 0000000038D4: D1CB0063 058E090B
	v_mul_f32_dpp v6, v27, v43 row_newbcast:0 row_mask:0xf bank_mask:0xf// 0000000038DC: 0A0C56FA FF01501B
	v_mfma_f32_16x16x32_fp8_fp8 v[8:11], a[80:81], a[24:25], 0 // 0000000038E4: D3F30008 1A023150
	v_mfma_f32_16x16x32_fp8_fp8 v[8:11], a[82:83], a[26:27], v[8:11]// 0000000038EC: D3F30008 1C223552
	v_mfma_f32_16x16x32_fp8_fp8 v[8:11], a[84:85], a[28:29], v[8:11]// 0000000038F4: D3F30008 1C223954
	s_add_u32 s60, 0x180, s80                                  // 0000000038FC: 803C50FF 00000180
	s_cmp_lt_u32 s60, s81                                      // 000000003904: BF0A513C
	s_cselect_b32 s57, s57, 0                                  // 000000003908: 85398039
	s_cselect_b32 s3, s3, 0                                    // 00000000390C: 85038003
	v_mfma_f32_16x16x32_fp8_fp8 v[8:11], a[86:87], a[30:31], v[8:11]// 000000003910: D3F30008 1C223D56
	s_add_u32 s60, 0x100, s80                                  // 000000003918: 803C50FF 00000100
	s_cmp_lt_u32 s60, s81                                      // 000000003920: BF0A513C
	s_cselect_b32 s58, s58, 0                                  // 000000003924: 853A803A
	v_fma_f32 v112, v12, v4, v112                              // 000000003928: D1CB0070 05C2090C
	v_fma_f32 v113, v13, v4, v113                              // 000000003930: D1CB0071 05C6090D
	v_fma_f32 v114, v14, v4, v114                              // 000000003938: D1CB0072 05CA090E
	v_fma_f32 v115, v15, v4, v115                              // 000000003940: D1CB0073 05CE090F
	v_mfma_f32_16x16x32_fp8_fp8 v[12:15], a[88:89], a[24:25], 0// 000000003948: D3F3000C 1A023158
	s_add_u32 s24, s58, s24                                    // 000000003950: 8018183A
	s_addc_u32 s25, 0, s25                                     // 000000003954: 82191980
	v_mfma_f32_16x16x32_fp8_fp8 v[12:15], a[90:91], a[26:27], v[12:15]// 000000003958: D3F3000C 1C32355A
	s_add_u32 s20, s57, s20                                    // 000000003960: 80141439
	s_addc_u32 s21, 0, s21                                     // 000000003964: 82151580
	s_add_u32 s28, s3, s28                                     // 000000003968: 801C1C03
	s_addc_u32 s29, 0, s29                                     // 00000000396C: 821D1D80
	v_mfma_f32_16x16x32_fp8_fp8 v[12:15], a[92:93], a[28:29], v[12:15]// 000000003970: D3F3000C 1C32395C
	s_add_u32 s84, s83, s84                                    // 000000003978: 80545453
	s_addc_u32 s85, 0, s85                                     // 00000000397C: 82555580
	v_mfma_f32_16x16x32_fp8_fp8 v[12:15], a[94:95], a[30:31], v[12:15]// 000000003980: D3F3000C 1C323D5E
	v_fma_f32 v100, v8, v6, v100                               // 000000003988: D1CB0064 05920D08
	v_fma_f32 v101, v9, v6, v101                               // 000000003990: D1CB0065 05960D09
	v_fma_f32 v102, v10, v6, v102                              // 000000003998: D1CB0066 059A0D0A
	v_fma_f32 v103, v11, v6, v103                              // 0000000039A0: D1CB0067 059E0D0B
	v_fma_f32 v116, v12, v6, v116                              // 0000000039A8: D1CB0074 05D20D0C
	v_fma_f32 v117, v13, v6, v117                              // 0000000039B0: D1CB0075 05D60D0D
	v_fma_f32 v118, v14, v6, v118                              // 0000000039B8: D1CB0076 05DA0D0E
	v_fma_f32 v119, v15, v6, v119                              // 0000000039C0: D1CB0077 05DE0D0F
	s_addk_i32 s80, 0x80                                       // 0000000039C8: B7500080
	s_cmp_lt_i32 s80, s81                                      // 0000000039CC: BF045150
	s_cbranch_scc0 label_057C                                  // 0000000039D0: BF840187
	s_waitcnt vmcnt(2) lgkmcnt(0)                              // 0000000039D4: BF8C0072
	s_barrier                                                  // 0000000039D8: BF8A0000
	v_mov_b32_e32 v40, v36                                     // 0000000039DC: 7E500324
	v_mov_b32_e32 v41, v37                                     // 0000000039E0: 7E520325
	v_mov_b32_e32 v42, v38                                     // 0000000039E4: 7E540326
	v_mov_b32_e32 v43, v39                                     // 0000000039E8: 7E560327
	v_mul_f32_dpp v4, v24, v40 row_newbcast:0 row_mask:0xf bank_mask:0xf// 0000000039EC: 0A0850FA FF015018
	v_mfma_f32_16x16x32_fp8_fp8 v[8:11], a[64:65], a[32:33], 0 // 0000000039F4: D3F30008 1A024140
	buffer_load_dword v27, v23, s[32:35], 0 offen              // 0000000039FC: E0501000 80081B17
	v_mfma_f32_16x16x32_fp8_fp8 v[8:11], a[66:67], a[34:35], v[8:11]// 000000003A04: D3F30008 1C224542
	buffer_load_dwordx4 a[80:83], v52, s[84:87], 0 offen       // 000000003A0C: E05C1000 80955034
	v_mfma_f32_16x16x32_fp8_fp8 v[8:11], a[68:69], a[36:37], v[8:11]// 000000003A14: D3F30008 1C224944
	v_mfma_f32_16x16x32_fp8_fp8 v[8:11], a[70:71], a[38:39], v[8:11]// 000000003A1C: D3F30008 1C224D46
	v_mul_f32_dpp v6, v24, v41 row_newbcast:0 row_mask:0xf bank_mask:0xf// 000000003A24: 0A0C52FA FF015018
	v_mfma_f32_16x16x32_fp8_fp8 v[12:15], a[64:65], a[40:41], 0// 000000003A2C: D3F3000C 1A025140
	v_mfma_f32_16x16x32_fp8_fp8 v[12:15], a[66:67], a[42:43], v[12:15]// 000000003A34: D3F3000C 1C325542
	buffer_load_dwordx4 a[84:87], v52, s[84:87], 0 offen offset:1024// 000000003A3C: E05C1400 80955434
	v_mfma_f32_16x16x32_fp8_fp8 v[12:15], a[68:69], a[44:45], v[12:15]// 000000003A44: D3F3000C 1C325944
	v_mfma_f32_16x16x32_fp8_fp8 v[12:15], a[70:71], a[46:47], v[12:15]// 000000003A4C: D3F3000C 1C325D46
	v_fma_f32 v56, v8, v4, v56                                 // 000000003A54: D1CB0038 04E20908
	v_fma_f32 v57, v9, v4, v57                                 // 000000003A5C: D1CB0039 04E60909
	v_fma_f32 v58, v10, v4, v58                                // 000000003A64: D1CB003A 04EA090A
	v_fma_f32 v59, v11, v4, v59                                // 000000003A6C: D1CB003B 04EE090B
	v_mul_f32_dpp v4, v24, v42 row_newbcast:0 row_mask:0xf bank_mask:0xf// 000000003A74: 0A0854FA FF015018
	v_mfma_f32_16x16x32_fp8_fp8 v[8:11], a[64:65], a[48:49], 0 // 000000003A7C: D3F30008 1A026140
	v_mfma_f32_16x16x32_fp8_fp8 v[8:11], a[66:67], a[50:51], v[8:11]// 000000003A84: D3F30008 1C226542
	buffer_load_dwordx4 a[88:91], v53, s[84:87], 0 offen       // 000000003A8C: E05C1000 80955835
	v_mfma_f32_16x16x32_fp8_fp8 v[8:11], a[68:69], a[52:53], v[8:11]// 000000003A94: D3F30008 1C226944
	v_mfma_f32_16x16x32_fp8_fp8 v[8:11], a[70:71], a[54:55], v[8:11]// 000000003A9C: D3F30008 1C226D46
	v_fma_f32 v60, v12, v6, v60                                // 000000003AA4: D1CB003C 04F20D0C
	v_fma_f32 v61, v13, v6, v61                                // 000000003AAC: D1CB003D 04F60D0D
	v_fma_f32 v62, v14, v6, v62                                // 000000003AB4: D1CB003E 04FA0D0E
	v_fma_f32 v63, v15, v6, v63                                // 000000003ABC: D1CB003F 04FE0D0F
	v_mul_f32_dpp v6, v24, v43 row_newbcast:0 row_mask:0xf bank_mask:0xf// 000000003AC4: 0A0C56FA FF015018
	v_mfma_f32_16x16x32_fp8_fp8 v[12:15], a[64:65], a[56:57], 0// 000000003ACC: D3F3000C 1A027140
	v_mfma_f32_16x16x32_fp8_fp8 v[12:15], a[66:67], a[58:59], v[12:15]// 000000003AD4: D3F3000C 1C327542
	buffer_load_dwordx4 a[92:95], v53, s[84:87], 0 offen offset:1024// 000000003ADC: E05C1400 80955C35
	buffer_load_dword v44, s[20:23], 0 offen lds               // 000000003AE4: E0511000 8005002C
	s_add_u32 m0, 0x100, s49                                   // 000000003AEC: 807C31FF 00000100
	v_mfma_f32_16x16x32_fp8_fp8 v[12:15], a[68:69], a[60:61], v[12:15]// 000000003AF4: D3F3000C 1C327944
	v_mfma_f32_16x16x32_fp8_fp8 v[12:15], a[70:71], a[62:63], v[12:15]// 000000003AFC: D3F3000C 1C327D46
	buffer_load_dword v45, s[20:23], 0 offen lds               // 000000003B04: E0511000 8005002D
	s_add_u32 m0, 0x200, s49                                   // 000000003B0C: 807C31FF 00000200
	v_fma_f32 v64, v8, v4, v64                                 // 000000003B14: D1CB0040 05020908
	v_fma_f32 v65, v9, v4, v65                                 // 000000003B1C: D1CB0041 05060909
	v_fma_f32 v66, v10, v4, v66                                // 000000003B24: D1CB0042 050A090A
	v_fma_f32 v67, v11, v4, v67                                // 000000003B2C: D1CB0043 050E090B
	s_waitcnt vmcnt(7)                                         // 000000003B34: BF8C0F77
	v_mul_f32_dpp v4, v24, v40 row_newbcast:0 row_mask:0xf bank_mask:0xf// 000000003B38: 0A0850FA FF015018
	v_mfma_f32_16x16x32_fp8_fp8 v[8:11], a[72:73], a[32:33], 0 // 000000003B40: D3F30008 1A024148
	v_mfma_f32_16x16x32_fp8_fp8 v[8:11], a[74:75], a[34:35], v[8:11]// 000000003B48: D3F30008 1C22454A
	buffer_load_dword v46, s[20:23], 0 offen lds               // 000000003B50: E0511000 8005002E
	s_add_u32 m0, 0x300, s49                                   // 000000003B58: 807C31FF 00000300
	v_mfma_f32_16x16x32_fp8_fp8 v[8:11], a[76:77], a[36:37], v[8:11]// 000000003B60: D3F30008 1C22494C
	v_mfma_f32_16x16x32_fp8_fp8 v[8:11], a[78:79], a[38:39], v[8:11]// 000000003B68: D3F30008 1C224D4E
	buffer_load_dword v47, s[20:23], 0 offen lds               // 000000003B70: E0511000 8005002F
	s_add_u32 m0, 0x400, s49                                   // 000000003B78: 807C31FF 00000400
	v_fma_f32 v68, v12, v6, v68                                // 000000003B80: D1CB0044 05120D0C
	v_fma_f32 v69, v13, v6, v69                                // 000000003B88: D1CB0045 05160D0D
	v_fma_f32 v70, v14, v6, v70                                // 000000003B90: D1CB0046 051A0D0E
	v_fma_f32 v71, v15, v6, v71                                // 000000003B98: D1CB0047 051E0D0F
	v_mul_f32_dpp v6, v24, v41 row_newbcast:0 row_mask:0xf bank_mask:0xf// 000000003BA0: 0A0C52FA FF015018
	v_mfma_f32_16x16x32_fp8_fp8 v[12:15], a[72:73], a[40:41], 0// 000000003BA8: D3F3000C 1A025148
	v_mfma_f32_16x16x32_fp8_fp8 v[12:15], a[74:75], a[42:43], v[12:15]// 000000003BB0: D3F3000C 1C32554A
	buffer_load_dword v48, s[20:23], 0 offen lds               // 000000003BB8: E0511000 80050030
	s_add_u32 m0, 0x500, s49                                   // 000000003BC0: 807C31FF 00000500
	v_mfma_f32_16x16x32_fp8_fp8 v[12:15], a[76:77], a[44:45], v[12:15]// 000000003BC8: D3F3000C 1C32594C
	v_mfma_f32_16x16x32_fp8_fp8 v[12:15], a[78:79], a[46:47], v[12:15]// 000000003BD0: D3F3000C 1C325D4E
	buffer_load_dword v49, s[20:23], 0 offen lds               // 000000003BD8: E0511000 80050031
	s_add_u32 m0, 0x600, s49                                   // 000000003BE0: 807C31FF 00000600
	v_fma_f32 v72, v8, v4, v72                                 // 000000003BE8: D1CB0048 05220908
	v_fma_f32 v73, v9, v4, v73                                 // 000000003BF0: D1CB0049 05260909
	v_fma_f32 v74, v10, v4, v74                                // 000000003BF8: D1CB004A 052A090A
	v_fma_f32 v75, v11, v4, v75                                // 000000003C00: D1CB004B 052E090B
	v_mul_f32_dpp v4, v24, v42 row_newbcast:0 row_mask:0xf bank_mask:0xf// 000000003C08: 0A0854FA FF015018
	v_mfma_f32_16x16x32_fp8_fp8 v[8:11], a[72:73], a[48:49], 0 // 000000003C10: D3F30008 1A026148
	v_mfma_f32_16x16x32_fp8_fp8 v[8:11], a[74:75], a[50:51], v[8:11]// 000000003C18: D3F30008 1C22654A
	buffer_load_dword v50, s[20:23], 0 offen lds               // 000000003C20: E0511000 80050032
	s_add_u32 m0, 0x700, s49                                   // 000000003C28: 807C31FF 00000700
	v_mfma_f32_16x16x32_fp8_fp8 v[8:11], a[76:77], a[52:53], v[8:11]// 000000003C30: D3F30008 1C22694C
	v_mfma_f32_16x16x32_fp8_fp8 v[8:11], a[78:79], a[54:55], v[8:11]// 000000003C38: D3F30008 1C226D4E
	buffer_load_dword v51, s[20:23], 0 offen lds               // 000000003C40: E0511000 80050033
	s_add_u32 m0, 0, s48                                       // 000000003C48: 807C3080
	v_fma_f32 v76, v12, v6, v76                                // 000000003C4C: D1CB004C 05320D0C
	v_fma_f32 v77, v13, v6, v77                                // 000000003C54: D1CB004D 05360D0D
	v_fma_f32 v78, v14, v6, v78                                // 000000003C5C: D1CB004E 053A0D0E
	v_fma_f32 v79, v15, v6, v79                                // 000000003C64: D1CB004F 053E0D0F
	v_mul_f32_dpp v6, v24, v43 row_newbcast:0 row_mask:0xf bank_mask:0xf// 000000003C6C: 0A0C56FA FF015018
	v_mfma_f32_16x16x32_fp8_fp8 v[12:15], a[72:73], a[56:57], 0// 000000003C74: D3F3000C 1A027148
	v_mfma_f32_16x16x32_fp8_fp8 v[12:15], a[74:75], a[58:59], v[12:15]// 000000003C7C: D3F3000C 1C32754A
	buffer_load_dword v36, v28, s[28:31], 0 offen              // 000000003C84: E0501000 8007241C
	s_add_u32 s60, 0x80, s80                                   // 000000003C8C: 803C50FF 00000080
	s_cmp_lt_u32 s60, s81                                      // 000000003C94: BF0A513C
	s_cselect_b32 s83, s83, 0                                  // 000000003C98: 85538053
	s_cselect_b32 s4, s4, 0                                    // 000000003C9C: 85048004
	v_mfma_f32_16x16x32_fp8_fp8 v[12:15], a[76:77], a[60:61], v[12:15]// 000000003CA0: D3F3000C 1C32794C
	s_add_u32 s32, s4, s32                                     // 000000003CA8: 80202004
	s_addc_u32 s33, 0, s33                                     // 000000003CAC: 82212180
	v_mfma_f32_16x16x32_fp8_fp8 v[12:15], a[78:79], a[62:63], v[12:15]// 000000003CB0: D3F3000C 1C327D4E
	buffer_load_dword v37, v29, s[28:31], 0 offen              // 000000003CB8: E0501000 8007251D
	v_fma_f32 v80, v8, v4, v80                                 // 000000003CC0: D1CB0050 05420908
	v_fma_f32 v81, v9, v4, v81                                 // 000000003CC8: D1CB0051 05460909
	v_fma_f32 v82, v10, v4, v82                                // 000000003CD0: D1CB0052 054A090A
	v_fma_f32 v83, v11, v4, v83                                // 000000003CD8: D1CB0053 054E090B
	v_fma_f32 v84, v12, v6, v84                                // 000000003CE0: D1CB0054 05520D0C
	v_fma_f32 v85, v13, v6, v85                                // 000000003CE8: D1CB0055 05560D0D
	v_fma_f32 v86, v14, v6, v86                                // 000000003CF0: D1CB0056 055A0D0E
	v_fma_f32 v87, v15, v6, v87                                // 000000003CF8: D1CB0057 055E0D0F
	buffer_load_dword v38, v30, s[28:31], 0 offen              // 000000003D00: E0501000 8007261E
	buffer_load_dword v39, v31, s[28:31], 0 offen              // 000000003D08: E0501000 8007271F
	s_waitcnt vmcnt(12)                                        // 000000003D10: BF8C0F7C
	v_mul_f32_dpp v4, v27, v40 row_newbcast:0 row_mask:0xf bank_mask:0xf// 000000003D14: 0A0850FA FF01501B
	v_mfma_f32_16x16x32_fp8_fp8 v[8:11], a[80:81], a[32:33], 0 // 000000003D1C: D3F30008 1A024150
	buffer_load_dword v24, v22, s[32:35], 0 offen              // 000000003D24: E0501000 80081816
	v_mfma_f32_16x16x32_fp8_fp8 v[8:11], a[82:83], a[34:35], v[8:11]// 000000003D2C: D3F30008 1C224552
	buffer_load_dwordx4 a[64:67], v52, s[24:27], 0 offen       // 000000003D34: E05C1000 80864034
	v_mfma_f32_16x16x32_fp8_fp8 v[8:11], a[84:85], a[36:37], v[8:11]// 000000003D3C: D3F30008 1C224954
	v_mfma_f32_16x16x32_fp8_fp8 v[8:11], a[86:87], a[38:39], v[8:11]// 000000003D44: D3F30008 1C224D56
	ds_read_b128 a[0:3], v2                                    // 000000003D4C: DBFE0000 00000002
	ds_read_b128 a[4:7], v2 offset:64                          // 000000003D54: DBFE0040 04000002
	v_mfma_f32_16x16x32_fp8_fp8 v[12:15], a[88:89], a[32:33], 0// 000000003D5C: D3F3000C 1A024158
	v_mfma_f32_16x16x32_fp8_fp8 v[12:15], a[90:91], a[34:35], v[12:15]// 000000003D64: D3F3000C 1C32455A
	buffer_load_dwordx4 a[68:71], v52, s[24:27], 0 offen offset:1024// 000000003D6C: E05C1400 80864434
	v_mfma_f32_16x16x32_fp8_fp8 v[12:15], a[92:93], a[36:37], v[12:15]// 000000003D74: D3F3000C 1C32495C
	v_mfma_f32_16x16x32_fp8_fp8 v[12:15], a[94:95], a[38:39], v[12:15]// 000000003D7C: D3F3000C 1C324D5E
	ds_read_b128 a[8:11], v2 offset:512                        // 000000003D84: DBFE0200 08000002
	ds_read_b128 a[12:15], v2 offset:576                       // 000000003D8C: DBFE0240 0C000002
	v_fma_f32 v88, v8, v4, v88                                 // 000000003D94: D1CB0058 05620908
	v_fma_f32 v89, v9, v4, v89                                 // 000000003D9C: D1CB0059 05660909
	v_fma_f32 v90, v10, v4, v90                                // 000000003DA4: D1CB005A 056A090A
	v_fma_f32 v91, v11, v4, v91                                // 000000003DAC: D1CB005B 056E090B
	v_mul_f32_dpp v6, v27, v41 row_newbcast:0 row_mask:0xf bank_mask:0xf// 000000003DB4: 0A0C52FA FF01501B
	v_mfma_f32_16x16x32_fp8_fp8 v[8:11], a[80:81], a[40:41], 0 // 000000003DBC: D3F30008 1A025150
	v_mfma_f32_16x16x32_fp8_fp8 v[8:11], a[82:83], a[42:43], v[8:11]// 000000003DC4: D3F30008 1C225552
	buffer_load_dwordx4 a[72:75], v53, s[24:27], 0 offen       // 000000003DCC: E05C1000 80864835
	v_mfma_f32_16x16x32_fp8_fp8 v[8:11], a[84:85], a[44:45], v[8:11]// 000000003DD4: D3F30008 1C225954
	v_mfma_f32_16x16x32_fp8_fp8 v[8:11], a[86:87], a[46:47], v[8:11]// 000000003DDC: D3F30008 1C225D56
	ds_read_b128 a[16:19], v2 offset:1024                      // 000000003DE4: DBFE0400 10000002
	ds_read_b128 a[20:23], v2 offset:1088                      // 000000003DEC: DBFE0440 14000002
	v_fma_f32 v104, v12, v4, v104                              // 000000003DF4: D1CB0068 05A2090C
	v_fma_f32 v105, v13, v4, v105                              // 000000003DFC: D1CB0069 05A6090D
	v_fma_f32 v106, v14, v4, v106                              // 000000003E04: D1CB006A 05AA090E
	v_fma_f32 v107, v15, v4, v107                              // 000000003E0C: D1CB006B 05AE090F
	v_mfma_f32_16x16x32_fp8_fp8 v[12:15], a[88:89], a[40:41], 0// 000000003E14: D3F3000C 1A025158
	v_mfma_f32_16x16x32_fp8_fp8 v[12:15], a[90:91], a[42:43], v[12:15]// 000000003E1C: D3F3000C 1C32555A
	buffer_load_dwordx4 a[76:79], v53, s[24:27], 0 offen offset:1024// 000000003E24: E05C1400 80864C35
	v_mfma_f32_16x16x32_fp8_fp8 v[12:15], a[92:93], a[44:45], v[12:15]// 000000003E2C: D3F3000C 1C32595C
	v_mfma_f32_16x16x32_fp8_fp8 v[12:15], a[94:95], a[46:47], v[12:15]// 000000003E34: D3F3000C 1C325D5E
	ds_read_b128 a[24:27], v2 offset:1536                      // 000000003E3C: DBFE0600 18000002
	ds_read_b128 a[28:31], v2 offset:1600                      // 000000003E44: DBFE0640 1C000002
	v_fma_f32 v92, v8, v6, v92                                 // 000000003E4C: D1CB005C 05720D08
	v_fma_f32 v93, v9, v6, v93                                 // 000000003E54: D1CB005D 05760D09
	v_fma_f32 v94, v10, v6, v94                                // 000000003E5C: D1CB005E 057A0D0A
	v_fma_f32 v95, v11, v6, v95                                // 000000003E64: D1CB005F 057E0D0B
	v_mul_f32_dpp v4, v27, v42 row_newbcast:0 row_mask:0xf bank_mask:0xf// 000000003E6C: 0A0854FA FF01501B
	v_mfma_f32_16x16x32_fp8_fp8 v[8:11], a[80:81], a[48:49], 0 // 000000003E74: D3F30008 1A026150
	v_mfma_f32_16x16x32_fp8_fp8 v[8:11], a[82:83], a[50:51], v[8:11]// 000000003E7C: D3F30008 1C226552
	v_mfma_f32_16x16x32_fp8_fp8 v[8:11], a[84:85], a[52:53], v[8:11]// 000000003E84: D3F30008 1C226954
	v_mfma_f32_16x16x32_fp8_fp8 v[8:11], a[86:87], a[54:55], v[8:11]// 000000003E8C: D3F30008 1C226D56
	v_fma_f32 v108, v12, v6, v108                              // 000000003E94: D1CB006C 05B20D0C
	v_fma_f32 v109, v13, v6, v109                              // 000000003E9C: D1CB006D 05B60D0D
	v_fma_f32 v110, v14, v6, v110                              // 000000003EA4: D1CB006E 05BA0D0E
	v_fma_f32 v111, v15, v6, v111                              // 000000003EAC: D1CB006F 05BE0D0F
	v_mfma_f32_16x16x32_fp8_fp8 v[12:15], a[88:89], a[48:49], 0// 000000003EB4: D3F3000C 1A026158
	v_mfma_f32_16x16x32_fp8_fp8 v[12:15], a[90:91], a[50:51], v[12:15]// 000000003EBC: D3F3000C 1C32655A
	v_mfma_f32_16x16x32_fp8_fp8 v[12:15], a[92:93], a[52:53], v[12:15]// 000000003EC4: D3F3000C 1C32695C
	v_mfma_f32_16x16x32_fp8_fp8 v[12:15], a[94:95], a[54:55], v[12:15]// 000000003ECC: D3F3000C 1C326D5E
	v_fma_f32 v96, v8, v4, v96                                 // 000000003ED4: D1CB0060 05820908
	v_fma_f32 v97, v9, v4, v97                                 // 000000003EDC: D1CB0061 05860909
	v_fma_f32 v98, v10, v4, v98                                // 000000003EE4: D1CB0062 058A090A
	v_fma_f32 v99, v11, v4, v99                                // 000000003EEC: D1CB0063 058E090B
	v_mul_f32_dpp v6, v27, v43 row_newbcast:0 row_mask:0xf bank_mask:0xf// 000000003EF4: 0A0C56FA FF01501B
	v_mfma_f32_16x16x32_fp8_fp8 v[8:11], a[80:81], a[56:57], 0 // 000000003EFC: D3F30008 1A027150
	v_mfma_f32_16x16x32_fp8_fp8 v[8:11], a[82:83], a[58:59], v[8:11]// 000000003F04: D3F30008 1C227552
	v_mfma_f32_16x16x32_fp8_fp8 v[8:11], a[84:85], a[60:61], v[8:11]// 000000003F0C: D3F30008 1C227954
	s_add_u32 s60, 0x180, s80                                  // 000000003F14: 803C50FF 00000180
	s_cmp_lt_u32 s60, s81                                      // 000000003F1C: BF0A513C
	s_cselect_b32 s57, s57, 0                                  // 000000003F20: 85398039
	s_cselect_b32 s3, s3, 0                                    // 000000003F24: 85038003
	v_mfma_f32_16x16x32_fp8_fp8 v[8:11], a[86:87], a[62:63], v[8:11]// 000000003F28: D3F30008 1C227D56
	s_add_u32 s60, 0x100, s80                                  // 000000003F30: 803C50FF 00000100
	s_cmp_lt_u32 s60, s81                                      // 000000003F38: BF0A513C
	s_cselect_b32 s58, s58, 0                                  // 000000003F3C: 853A803A
	v_fma_f32 v112, v12, v4, v112                              // 000000003F40: D1CB0070 05C2090C
	v_fma_f32 v113, v13, v4, v113                              // 000000003F48: D1CB0071 05C6090D
	v_fma_f32 v114, v14, v4, v114                              // 000000003F50: D1CB0072 05CA090E
	v_fma_f32 v115, v15, v4, v115                              // 000000003F58: D1CB0073 05CE090F
	v_mfma_f32_16x16x32_fp8_fp8 v[12:15], a[88:89], a[56:57], 0// 000000003F60: D3F3000C 1A027158
	s_add_u32 s24, s58, s24                                    // 000000003F68: 8018183A
	s_addc_u32 s25, 0, s25                                     // 000000003F6C: 82191980
	v_mfma_f32_16x16x32_fp8_fp8 v[12:15], a[90:91], a[58:59], v[12:15]// 000000003F70: D3F3000C 1C32755A
	s_add_u32 s20, s57, s20                                    // 000000003F78: 80141439
	s_addc_u32 s21, 0, s21                                     // 000000003F7C: 82151580
	s_add_u32 s28, s3, s28                                     // 000000003F80: 801C1C03
	s_addc_u32 s29, 0, s29                                     // 000000003F84: 821D1D80
	v_mfma_f32_16x16x32_fp8_fp8 v[12:15], a[92:93], a[60:61], v[12:15]// 000000003F88: D3F3000C 1C32795C
	s_add_u32 s84, s83, s84                                    // 000000003F90: 80545453
	s_addc_u32 s85, 0, s85                                     // 000000003F94: 82555580
	v_mfma_f32_16x16x32_fp8_fp8 v[12:15], a[94:95], a[62:63], v[12:15]// 000000003F98: D3F3000C 1C327D5E
	v_fma_f32 v100, v8, v6, v100                               // 000000003FA0: D1CB0064 05920D08
	v_fma_f32 v101, v9, v6, v101                               // 000000003FA8: D1CB0065 05960D09
	v_fma_f32 v102, v10, v6, v102                              // 000000003FB0: D1CB0066 059A0D0A
	v_fma_f32 v103, v11, v6, v103                              // 000000003FB8: D1CB0067 059E0D0B
	v_fma_f32 v116, v12, v6, v116                              // 000000003FC0: D1CB0074 05D20D0C
	v_fma_f32 v117, v13, v6, v117                              // 000000003FC8: D1CB0075 05D60D0D
	v_fma_f32 v118, v14, v6, v118                              // 000000003FD0: D1CB0076 05DA0D0E
	v_fma_f32 v119, v15, v6, v119                              // 000000003FD8: D1CB0077 05DE0D0F
	s_addk_i32 s80, 0x80                                       // 000000003FE0: B7500080
	s_cmp_lt_i32 s80, s81                                      // 000000003FE4: BF045150
	s_cbranch_scc0 label_057C                                  // 000000003FE8: BF840001
	s_branch label_026F                                        // 000000003FEC: BF82FCF3

0000000000003ff0 <label_057C>:
	s_cmp_eq_u32 s88, 0                                        // 000000003FF0: BF068058
	s_cbranch_scc0 label_0AFD                                  // 000000003FF4: BF84057F
	s_cmp_eq_u32 s89, 0                                        // 000000003FF8: BF068059
	s_cbranch_scc1 label_06C5                                  // 000000003FFC: BF850145
	v_mov_b32_e32 v8, v1                                       // 000000004000: 7E100301
	v_mov_b32_e32 v9, v1                                       // 000000004004: 7E120301
	s_mov_b32 s60, s6                                          // 000000004008: BEBC0006
	s_mov_b32 s61, s6                                          // 00000000400C: BEBD0006
	v_pk_mul_f32 v[4:5], v[56:57], v[56:57]                    // 000000004010: D3B14004 18027138
	v_pk_mul_f32 v[6:7], v[58:59], v[58:59]                    // 000000004018: D3B14006 1802753A
	v_pk_fma_f32 v[4:5], v[4:5], s[78:79], v[8:9]              // 000000004020: D3B04004 1C209D04
	v_pk_fma_f32 v[6:7], v[6:7], s[78:79], v[8:9]              // 000000004028: D3B04006 1C209D06
	v_pk_mul_f32 v[4:5], v[4:5], v[56:57]                      // 000000004030: D3B14004 18027104
	v_pk_mul_f32 v[6:7], v[6:7], v[58:59]                      // 000000004038: D3B14006 18027506
	v_pk_mul_f32 v[4:5], v[4:5], s[60:61]                      // 000000004040: D3B14004 18007904
	v_pk_mul_f32 v[6:7], v[6:7], s[60:61]                      // 000000004048: D3B14006 18007906
	v_exp_f32_e32 v4, v4                                       // 000000004050: 7E084104
	v_exp_f32_e32 v5, v5                                       // 000000004054: 7E0A4105
	v_exp_f32_e32 v6, v6                                       // 000000004058: 7E0C4106
	v_exp_f32_e32 v7, v7                                       // 00000000405C: 7E0E4107
	v_add_f32_e64 v4, v4, 1.0                                  // 000000004060: D1010004 0001E504
	v_add_f32_e64 v5, v5, 1.0                                  // 000000004068: D1010005 0001E505
	v_add_f32_e64 v6, v6, 1.0                                  // 000000004070: D1010006 0001E506
	v_add_f32_e64 v7, v7, 1.0                                  // 000000004078: D1010007 0001E507
	v_rcp_f32_e32 v4, v4                                       // 000000004080: 7E084504
	v_rcp_f32_e32 v5, v5                                       // 000000004084: 7E0A4505
	v_rcp_f32_e32 v6, v6                                       // 000000004088: 7E0C4506
	v_rcp_f32_e32 v7, v7                                       // 00000000408C: 7E0E4507
	v_mul_f32_e32 v56, v56, v4                                 // 000000004090: 0A700938
	v_mul_f32_e32 v57, v57, v5                                 // 000000004094: 0A720B39
	v_mul_f32_e32 v58, v58, v6                                 // 000000004098: 0A740D3A
	v_mul_f32_e32 v59, v59, v7                                 // 00000000409C: 0A760F3B
	v_mul_f32_e32 v56, v56, v88                                // 0000000040A0: 0A70B138
	v_mul_f32_e32 v57, v57, v89                                // 0000000040A4: 0A72B339
	v_mul_f32_e32 v58, v58, v90                                // 0000000040A8: 0A74B53A
	v_mul_f32_e32 v59, v59, v91                                // 0000000040AC: 0A76B73B
	v_pk_mul_f32 v[4:5], v[60:61], v[60:61]                    // 0000000040B0: D3B14004 1802793C
	v_pk_mul_f32 v[6:7], v[62:63], v[62:63]                    // 0000000040B8: D3B14006 18027D3E
	v_pk_fma_f32 v[4:5], v[4:5], s[78:79], v[8:9]              // 0000000040C0: D3B04004 1C209D04
	v_pk_fma_f32 v[6:7], v[6:7], s[78:79], v[8:9]              // 0000000040C8: D3B04006 1C209D06
	v_pk_mul_f32 v[4:5], v[4:5], v[60:61]                      // 0000000040D0: D3B14004 18027904
	v_pk_mul_f32 v[6:7], v[6:7], v[62:63]                      // 0000000040D8: D3B14006 18027D06
	v_pk_mul_f32 v[4:5], v[4:5], s[60:61]                      // 0000000040E0: D3B14004 18007904
	v_pk_mul_f32 v[6:7], v[6:7], s[60:61]                      // 0000000040E8: D3B14006 18007906
	v_exp_f32_e32 v4, v4                                       // 0000000040F0: 7E084104
	v_exp_f32_e32 v5, v5                                       // 0000000040F4: 7E0A4105
	v_exp_f32_e32 v6, v6                                       // 0000000040F8: 7E0C4106
	v_exp_f32_e32 v7, v7                                       // 0000000040FC: 7E0E4107
	v_add_f32_e64 v4, v4, 1.0                                  // 000000004100: D1010004 0001E504
	v_add_f32_e64 v5, v5, 1.0                                  // 000000004108: D1010005 0001E505
	v_add_f32_e64 v6, v6, 1.0                                  // 000000004110: D1010006 0001E506
	v_add_f32_e64 v7, v7, 1.0                                  // 000000004118: D1010007 0001E507
	v_rcp_f32_e32 v4, v4                                       // 000000004120: 7E084504
	v_rcp_f32_e32 v5, v5                                       // 000000004124: 7E0A4505
	v_rcp_f32_e32 v6, v6                                       // 000000004128: 7E0C4506
	v_rcp_f32_e32 v7, v7                                       // 00000000412C: 7E0E4507
	v_mul_f32_e32 v60, v60, v4                                 // 000000004130: 0A78093C
	v_mul_f32_e32 v61, v61, v5                                 // 000000004134: 0A7A0B3D
	v_mul_f32_e32 v62, v62, v6                                 // 000000004138: 0A7C0D3E
	v_mul_f32_e32 v63, v63, v7                                 // 00000000413C: 0A7E0F3F
	v_mul_f32_e32 v60, v60, v92                                // 000000004140: 0A78B93C
	v_mul_f32_e32 v61, v61, v93                                // 000000004144: 0A7ABB3D
	v_mul_f32_e32 v62, v62, v94                                // 000000004148: 0A7CBD3E
	v_mul_f32_e32 v63, v63, v95                                // 00000000414C: 0A7EBF3F
	v_pk_mul_f32 v[4:5], v[64:65], v[64:65]                    // 000000004150: D3B14004 18028140
	v_pk_mul_f32 v[6:7], v[66:67], v[66:67]                    // 000000004158: D3B14006 18028542
	v_pk_fma_f32 v[4:5], v[4:5], s[78:79], v[8:9]              // 000000004160: D3B04004 1C209D04
	v_pk_fma_f32 v[6:7], v[6:7], s[78:79], v[8:9]              // 000000004168: D3B04006 1C209D06
	v_pk_mul_f32 v[4:5], v[4:5], v[64:65]                      // 000000004170: D3B14004 18028104
	v_pk_mul_f32 v[6:7], v[6:7], v[66:67]                      // 000000004178: D3B14006 18028506
	v_pk_mul_f32 v[4:5], v[4:5], s[60:61]                      // 000000004180: D3B14004 18007904
	v_pk_mul_f32 v[6:7], v[6:7], s[60:61]                      // 000000004188: D3B14006 18007906
	v_exp_f32_e32 v4, v4                                       // 000000004190: 7E084104
	v_exp_f32_e32 v5, v5                                       // 000000004194: 7E0A4105
	v_exp_f32_e32 v6, v6                                       // 000000004198: 7E0C4106
	v_exp_f32_e32 v7, v7                                       // 00000000419C: 7E0E4107
	v_add_f32_e64 v4, v4, 1.0                                  // 0000000041A0: D1010004 0001E504
	v_add_f32_e64 v5, v5, 1.0                                  // 0000000041A8: D1010005 0001E505
	v_add_f32_e64 v6, v6, 1.0                                  // 0000000041B0: D1010006 0001E506
	v_add_f32_e64 v7, v7, 1.0                                  // 0000000041B8: D1010007 0001E507
	v_rcp_f32_e32 v4, v4                                       // 0000000041C0: 7E084504
	v_rcp_f32_e32 v5, v5                                       // 0000000041C4: 7E0A4505
	v_rcp_f32_e32 v6, v6                                       // 0000000041C8: 7E0C4506
	v_rcp_f32_e32 v7, v7                                       // 0000000041CC: 7E0E4507
	v_mul_f32_e32 v64, v64, v4                                 // 0000000041D0: 0A800940
	v_mul_f32_e32 v65, v65, v5                                 // 0000000041D4: 0A820B41
	v_mul_f32_e32 v66, v66, v6                                 // 0000000041D8: 0A840D42
	v_mul_f32_e32 v67, v67, v7                                 // 0000000041DC: 0A860F43
	v_mul_f32_e32 v64, v64, v96                                // 0000000041E0: 0A80C140
	v_mul_f32_e32 v65, v65, v97                                // 0000000041E4: 0A82C341
	v_mul_f32_e32 v66, v66, v98                                // 0000000041E8: 0A84C542
	v_mul_f32_e32 v67, v67, v99                                // 0000000041EC: 0A86C743
	v_pk_mul_f32 v[4:5], v[68:69], v[68:69]                    // 0000000041F0: D3B14004 18028944
	v_pk_mul_f32 v[6:7], v[70:71], v[70:71]                    // 0000000041F8: D3B14006 18028D46
	v_pk_fma_f32 v[4:5], v[4:5], s[78:79], v[8:9]              // 000000004200: D3B04004 1C209D04
	v_pk_fma_f32 v[6:7], v[6:7], s[78:79], v[8:9]              // 000000004208: D3B04006 1C209D06
	v_pk_mul_f32 v[4:5], v[4:5], v[68:69]                      // 000000004210: D3B14004 18028904
	v_pk_mul_f32 v[6:7], v[6:7], v[70:71]                      // 000000004218: D3B14006 18028D06
	v_pk_mul_f32 v[4:5], v[4:5], s[60:61]                      // 000000004220: D3B14004 18007904
	v_pk_mul_f32 v[6:7], v[6:7], s[60:61]                      // 000000004228: D3B14006 18007906
	v_exp_f32_e32 v4, v4                                       // 000000004230: 7E084104
	v_exp_f32_e32 v5, v5                                       // 000000004234: 7E0A4105
	v_exp_f32_e32 v6, v6                                       // 000000004238: 7E0C4106
	v_exp_f32_e32 v7, v7                                       // 00000000423C: 7E0E4107
	v_add_f32_e64 v4, v4, 1.0                                  // 000000004240: D1010004 0001E504
	v_add_f32_e64 v5, v5, 1.0                                  // 000000004248: D1010005 0001E505
	v_add_f32_e64 v6, v6, 1.0                                  // 000000004250: D1010006 0001E506
	v_add_f32_e64 v7, v7, 1.0                                  // 000000004258: D1010007 0001E507
	v_rcp_f32_e32 v4, v4                                       // 000000004260: 7E084504
	v_rcp_f32_e32 v5, v5                                       // 000000004264: 7E0A4505
	v_rcp_f32_e32 v6, v6                                       // 000000004268: 7E0C4506
	v_rcp_f32_e32 v7, v7                                       // 00000000426C: 7E0E4507
	v_mul_f32_e32 v68, v68, v4                                 // 000000004270: 0A880944
	v_mul_f32_e32 v69, v69, v5                                 // 000000004274: 0A8A0B45
	v_mul_f32_e32 v70, v70, v6                                 // 000000004278: 0A8C0D46
	v_mul_f32_e32 v71, v71, v7                                 // 00000000427C: 0A8E0F47
	v_mul_f32_e32 v68, v68, v100                               // 000000004280: 0A88C944
	v_mul_f32_e32 v69, v69, v101                               // 000000004284: 0A8ACB45
	v_mul_f32_e32 v70, v70, v102                               // 000000004288: 0A8CCD46
	v_mul_f32_e32 v71, v71, v103                               // 00000000428C: 0A8ECF47
	v_pk_mul_f32 v[4:5], v[72:73], v[72:73]                    // 000000004290: D3B14004 18029148
	v_pk_mul_f32 v[6:7], v[74:75], v[74:75]                    // 000000004298: D3B14006 1802954A
	v_pk_fma_f32 v[4:5], v[4:5], s[78:79], v[8:9]              // 0000000042A0: D3B04004 1C209D04
	v_pk_fma_f32 v[6:7], v[6:7], s[78:79], v[8:9]              // 0000000042A8: D3B04006 1C209D06
	v_pk_mul_f32 v[4:5], v[4:5], v[72:73]                      // 0000000042B0: D3B14004 18029104
	v_pk_mul_f32 v[6:7], v[6:7], v[74:75]                      // 0000000042B8: D3B14006 18029506
	v_pk_mul_f32 v[4:5], v[4:5], s[60:61]                      // 0000000042C0: D3B14004 18007904
	v_pk_mul_f32 v[6:7], v[6:7], s[60:61]                      // 0000000042C8: D3B14006 18007906
	v_exp_f32_e32 v4, v4                                       // 0000000042D0: 7E084104
	v_exp_f32_e32 v5, v5                                       // 0000000042D4: 7E0A4105
	v_exp_f32_e32 v6, v6                                       // 0000000042D8: 7E0C4106
	v_exp_f32_e32 v7, v7                                       // 0000000042DC: 7E0E4107
	v_add_f32_e64 v4, v4, 1.0                                  // 0000000042E0: D1010004 0001E504
	v_add_f32_e64 v5, v5, 1.0                                  // 0000000042E8: D1010005 0001E505
	v_add_f32_e64 v6, v6, 1.0                                  // 0000000042F0: D1010006 0001E506
	v_add_f32_e64 v7, v7, 1.0                                  // 0000000042F8: D1010007 0001E507
	v_rcp_f32_e32 v4, v4                                       // 000000004300: 7E084504
	v_rcp_f32_e32 v5, v5                                       // 000000004304: 7E0A4505
	v_rcp_f32_e32 v6, v6                                       // 000000004308: 7E0C4506
	v_rcp_f32_e32 v7, v7                                       // 00000000430C: 7E0E4507
	v_mul_f32_e32 v72, v72, v4                                 // 000000004310: 0A900948
	v_mul_f32_e32 v73, v73, v5                                 // 000000004314: 0A920B49
	v_mul_f32_e32 v74, v74, v6                                 // 000000004318: 0A940D4A
	v_mul_f32_e32 v75, v75, v7                                 // 00000000431C: 0A960F4B
	v_mul_f32_e32 v72, v72, v104                               // 000000004320: 0A90D148
	v_mul_f32_e32 v73, v73, v105                               // 000000004324: 0A92D349
	v_mul_f32_e32 v74, v74, v106                               // 000000004328: 0A94D54A
	v_mul_f32_e32 v75, v75, v107                               // 00000000432C: 0A96D74B
	v_pk_mul_f32 v[4:5], v[76:77], v[76:77]                    // 000000004330: D3B14004 1802994C
	v_pk_mul_f32 v[6:7], v[78:79], v[78:79]                    // 000000004338: D3B14006 18029D4E
	v_pk_fma_f32 v[4:5], v[4:5], s[78:79], v[8:9]              // 000000004340: D3B04004 1C209D04
	v_pk_fma_f32 v[6:7], v[6:7], s[78:79], v[8:9]              // 000000004348: D3B04006 1C209D06
	v_pk_mul_f32 v[4:5], v[4:5], v[76:77]                      // 000000004350: D3B14004 18029904
	v_pk_mul_f32 v[6:7], v[6:7], v[78:79]                      // 000000004358: D3B14006 18029D06
	v_pk_mul_f32 v[4:5], v[4:5], s[60:61]                      // 000000004360: D3B14004 18007904
	v_pk_mul_f32 v[6:7], v[6:7], s[60:61]                      // 000000004368: D3B14006 18007906
	v_exp_f32_e32 v4, v4                                       // 000000004370: 7E084104
	v_exp_f32_e32 v5, v5                                       // 000000004374: 7E0A4105
	v_exp_f32_e32 v6, v6                                       // 000000004378: 7E0C4106
	v_exp_f32_e32 v7, v7                                       // 00000000437C: 7E0E4107
	v_add_f32_e64 v4, v4, 1.0                                  // 000000004380: D1010004 0001E504
	v_add_f32_e64 v5, v5, 1.0                                  // 000000004388: D1010005 0001E505
	v_add_f32_e64 v6, v6, 1.0                                  // 000000004390: D1010006 0001E506
	v_add_f32_e64 v7, v7, 1.0                                  // 000000004398: D1010007 0001E507
	v_rcp_f32_e32 v4, v4                                       // 0000000043A0: 7E084504
	v_rcp_f32_e32 v5, v5                                       // 0000000043A4: 7E0A4505
	v_rcp_f32_e32 v6, v6                                       // 0000000043A8: 7E0C4506
	v_rcp_f32_e32 v7, v7                                       // 0000000043AC: 7E0E4507
	v_mul_f32_e32 v76, v76, v4                                 // 0000000043B0: 0A98094C
	v_mul_f32_e32 v77, v77, v5                                 // 0000000043B4: 0A9A0B4D
	v_mul_f32_e32 v78, v78, v6                                 // 0000000043B8: 0A9C0D4E
	v_mul_f32_e32 v79, v79, v7                                 // 0000000043BC: 0A9E0F4F
	v_mul_f32_e32 v76, v76, v108                               // 0000000043C0: 0A98D94C
	v_mul_f32_e32 v77, v77, v109                               // 0000000043C4: 0A9ADB4D
	v_mul_f32_e32 v78, v78, v110                               // 0000000043C8: 0A9CDD4E
	v_mul_f32_e32 v79, v79, v111                               // 0000000043CC: 0A9EDF4F
	v_pk_mul_f32 v[4:5], v[80:81], v[80:81]                    // 0000000043D0: D3B14004 1802A150
	v_pk_mul_f32 v[6:7], v[82:83], v[82:83]                    // 0000000043D8: D3B14006 1802A552
	v_pk_fma_f32 v[4:5], v[4:5], s[78:79], v[8:9]              // 0000000043E0: D3B04004 1C209D04
	v_pk_fma_f32 v[6:7], v[6:7], s[78:79], v[8:9]              // 0000000043E8: D3B04006 1C209D06
	v_pk_mul_f32 v[4:5], v[4:5], v[80:81]                      // 0000000043F0: D3B14004 1802A104
	v_pk_mul_f32 v[6:7], v[6:7], v[82:83]                      // 0000000043F8: D3B14006 1802A506
	v_pk_mul_f32 v[4:5], v[4:5], s[60:61]                      // 000000004400: D3B14004 18007904
	v_pk_mul_f32 v[6:7], v[6:7], s[60:61]                      // 000000004408: D3B14006 18007906
	v_exp_f32_e32 v4, v4                                       // 000000004410: 7E084104
	v_exp_f32_e32 v5, v5                                       // 000000004414: 7E0A4105
	v_exp_f32_e32 v6, v6                                       // 000000004418: 7E0C4106
	v_exp_f32_e32 v7, v7                                       // 00000000441C: 7E0E4107
	v_add_f32_e64 v4, v4, 1.0                                  // 000000004420: D1010004 0001E504
	v_add_f32_e64 v5, v5, 1.0                                  // 000000004428: D1010005 0001E505
	v_add_f32_e64 v6, v6, 1.0                                  // 000000004430: D1010006 0001E506
	v_add_f32_e64 v7, v7, 1.0                                  // 000000004438: D1010007 0001E507
	v_rcp_f32_e32 v4, v4                                       // 000000004440: 7E084504
	v_rcp_f32_e32 v5, v5                                       // 000000004444: 7E0A4505
	v_rcp_f32_e32 v6, v6                                       // 000000004448: 7E0C4506
	v_rcp_f32_e32 v7, v7                                       // 00000000444C: 7E0E4507
	v_mul_f32_e32 v80, v80, v4                                 // 000000004450: 0AA00950
	v_mul_f32_e32 v81, v81, v5                                 // 000000004454: 0AA20B51
	v_mul_f32_e32 v82, v82, v6                                 // 000000004458: 0AA40D52
	v_mul_f32_e32 v83, v83, v7                                 // 00000000445C: 0AA60F53
	v_mul_f32_e32 v80, v80, v112                               // 000000004460: 0AA0E150
	v_mul_f32_e32 v81, v81, v113                               // 000000004464: 0AA2E351
	v_mul_f32_e32 v82, v82, v114                               // 000000004468: 0AA4E552
	v_mul_f32_e32 v83, v83, v115                               // 00000000446C: 0AA6E753
	v_pk_mul_f32 v[4:5], v[84:85], v[84:85]                    // 000000004470: D3B14004 1802A954
	v_pk_mul_f32 v[6:7], v[86:87], v[86:87]                    // 000000004478: D3B14006 1802AD56
	v_pk_fma_f32 v[4:5], v[4:5], s[78:79], v[8:9]              // 000000004480: D3B04004 1C209D04
	v_pk_fma_f32 v[6:7], v[6:7], s[78:79], v[8:9]              // 000000004488: D3B04006 1C209D06
	v_pk_mul_f32 v[4:5], v[4:5], v[84:85]                      // 000000004490: D3B14004 1802A904
	v_pk_mul_f32 v[6:7], v[6:7], v[86:87]                      // 000000004498: D3B14006 1802AD06
	v_pk_mul_f32 v[4:5], v[4:5], s[60:61]                      // 0000000044A0: D3B14004 18007904
	v_pk_mul_f32 v[6:7], v[6:7], s[60:61]                      // 0000000044A8: D3B14006 18007906
	v_exp_f32_e32 v4, v4                                       // 0000000044B0: 7E084104
	v_exp_f32_e32 v5, v5                                       // 0000000044B4: 7E0A4105
	v_exp_f32_e32 v6, v6                                       // 0000000044B8: 7E0C4106
	v_exp_f32_e32 v7, v7                                       // 0000000044BC: 7E0E4107
	v_add_f32_e64 v4, v4, 1.0                                  // 0000000044C0: D1010004 0001E504
	v_add_f32_e64 v5, v5, 1.0                                  // 0000000044C8: D1010005 0001E505
	v_add_f32_e64 v6, v6, 1.0                                  // 0000000044D0: D1010006 0001E506
	v_add_f32_e64 v7, v7, 1.0                                  // 0000000044D8: D1010007 0001E507
	v_rcp_f32_e32 v4, v4                                       // 0000000044E0: 7E084504
	v_rcp_f32_e32 v5, v5                                       // 0000000044E4: 7E0A4505
	v_rcp_f32_e32 v6, v6                                       // 0000000044E8: 7E0C4506
	v_rcp_f32_e32 v7, v7                                       // 0000000044EC: 7E0E4507
	v_mul_f32_e32 v84, v84, v4                                 // 0000000044F0: 0AA80954
	v_mul_f32_e32 v85, v85, v5                                 // 0000000044F4: 0AAA0B55
	v_mul_f32_e32 v86, v86, v6                                 // 0000000044F8: 0AAC0D56
	v_mul_f32_e32 v87, v87, v7                                 // 0000000044FC: 0AAE0F57
	v_mul_f32_e32 v84, v84, v116                               // 000000004500: 0AA8E954
	v_mul_f32_e32 v85, v85, v117                               // 000000004504: 0AAAEB55
	v_mul_f32_e32 v86, v86, v118                               // 000000004508: 0AACED56
	v_mul_f32_e32 v87, v87, v119                               // 00000000450C: 0AAEEF57
	s_branch label_07C5                                        // 000000004510: BF820100

0000000000004514 <label_06C5>:
	v_mul_f32_e64 v4, -v56, s6                                 // 000000004514: D1050004 20000D38
	v_mul_f32_e64 v5, -v57, s6                                 // 00000000451C: D1050005 20000D39
	v_mul_f32_e64 v6, -v58, s6                                 // 000000004524: D1050006 20000D3A
	v_mul_f32_e64 v7, -v59, s6                                 // 00000000452C: D1050007 20000D3B
	v_exp_f32_e32 v4, v4                                       // 000000004534: 7E084104
	v_exp_f32_e32 v5, v5                                       // 000000004538: 7E0A4105
	v_exp_f32_e32 v6, v6                                       // 00000000453C: 7E0C4106
	v_exp_f32_e32 v7, v7                                       // 000000004540: 7E0E4107
	v_add_f32_e64 v4, v4, 1.0                                  // 000000004544: D1010004 0001E504
	v_add_f32_e64 v5, v5, 1.0                                  // 00000000454C: D1010005 0001E505
	v_add_f32_e64 v6, v6, 1.0                                  // 000000004554: D1010006 0001E506
	v_add_f32_e64 v7, v7, 1.0                                  // 00000000455C: D1010007 0001E507
	v_rcp_f32_e32 v4, v4                                       // 000000004564: 7E084504
	v_rcp_f32_e32 v5, v5                                       // 000000004568: 7E0A4505
	v_rcp_f32_e32 v6, v6                                       // 00000000456C: 7E0C4506
	v_rcp_f32_e32 v7, v7                                       // 000000004570: 7E0E4507
	v_mul_f32_e32 v56, v56, v4                                 // 000000004574: 0A700938
	v_mul_f32_e32 v57, v57, v5                                 // 000000004578: 0A720B39
	v_mul_f32_e32 v58, v58, v6                                 // 00000000457C: 0A740D3A
	v_mul_f32_e32 v59, v59, v7                                 // 000000004580: 0A760F3B
	v_mul_f32_e32 v56, v56, v88                                // 000000004584: 0A70B138
	v_mul_f32_e32 v57, v57, v89                                // 000000004588: 0A72B339
	v_mul_f32_e32 v58, v58, v90                                // 00000000458C: 0A74B53A
	v_mul_f32_e32 v59, v59, v91                                // 000000004590: 0A76B73B
	v_mul_f32_e64 v4, -v60, s6                                 // 000000004594: D1050004 20000D3C
	v_mul_f32_e64 v5, -v61, s6                                 // 00000000459C: D1050005 20000D3D
	v_mul_f32_e64 v6, -v62, s6                                 // 0000000045A4: D1050006 20000D3E
	v_mul_f32_e64 v7, -v63, s6                                 // 0000000045AC: D1050007 20000D3F
	v_exp_f32_e32 v4, v4                                       // 0000000045B4: 7E084104
	v_exp_f32_e32 v5, v5                                       // 0000000045B8: 7E0A4105
	v_exp_f32_e32 v6, v6                                       // 0000000045BC: 7E0C4106
	v_exp_f32_e32 v7, v7                                       // 0000000045C0: 7E0E4107
	v_add_f32_e64 v4, v4, 1.0                                  // 0000000045C4: D1010004 0001E504
	v_add_f32_e64 v5, v5, 1.0                                  // 0000000045CC: D1010005 0001E505
	v_add_f32_e64 v6, v6, 1.0                                  // 0000000045D4: D1010006 0001E506
	v_add_f32_e64 v7, v7, 1.0                                  // 0000000045DC: D1010007 0001E507
	v_rcp_f32_e32 v4, v4                                       // 0000000045E4: 7E084504
	v_rcp_f32_e32 v5, v5                                       // 0000000045E8: 7E0A4505
	v_rcp_f32_e32 v6, v6                                       // 0000000045EC: 7E0C4506
	v_rcp_f32_e32 v7, v7                                       // 0000000045F0: 7E0E4507
	v_mul_f32_e32 v60, v60, v4                                 // 0000000045F4: 0A78093C
	v_mul_f32_e32 v61, v61, v5                                 // 0000000045F8: 0A7A0B3D
	v_mul_f32_e32 v62, v62, v6                                 // 0000000045FC: 0A7C0D3E
	v_mul_f32_e32 v63, v63, v7                                 // 000000004600: 0A7E0F3F
	v_mul_f32_e32 v60, v60, v92                                // 000000004604: 0A78B93C
	v_mul_f32_e32 v61, v61, v93                                // 000000004608: 0A7ABB3D
	v_mul_f32_e32 v62, v62, v94                                // 00000000460C: 0A7CBD3E
	v_mul_f32_e32 v63, v63, v95                                // 000000004610: 0A7EBF3F
	v_mul_f32_e64 v4, -v64, s6                                 // 000000004614: D1050004 20000D40
	v_mul_f32_e64 v5, -v65, s6                                 // 00000000461C: D1050005 20000D41
	v_mul_f32_e64 v6, -v66, s6                                 // 000000004624: D1050006 20000D42
	v_mul_f32_e64 v7, -v67, s6                                 // 00000000462C: D1050007 20000D43
	v_exp_f32_e32 v4, v4                                       // 000000004634: 7E084104
	v_exp_f32_e32 v5, v5                                       // 000000004638: 7E0A4105
	v_exp_f32_e32 v6, v6                                       // 00000000463C: 7E0C4106
	v_exp_f32_e32 v7, v7                                       // 000000004640: 7E0E4107
	v_add_f32_e64 v4, v4, 1.0                                  // 000000004644: D1010004 0001E504
	v_add_f32_e64 v5, v5, 1.0                                  // 00000000464C: D1010005 0001E505
	v_add_f32_e64 v6, v6, 1.0                                  // 000000004654: D1010006 0001E506
	v_add_f32_e64 v7, v7, 1.0                                  // 00000000465C: D1010007 0001E507
	v_rcp_f32_e32 v4, v4                                       // 000000004664: 7E084504
	v_rcp_f32_e32 v5, v5                                       // 000000004668: 7E0A4505
	v_rcp_f32_e32 v6, v6                                       // 00000000466C: 7E0C4506
	v_rcp_f32_e32 v7, v7                                       // 000000004670: 7E0E4507
	v_mul_f32_e32 v64, v64, v4                                 // 000000004674: 0A800940
	v_mul_f32_e32 v65, v65, v5                                 // 000000004678: 0A820B41
	v_mul_f32_e32 v66, v66, v6                                 // 00000000467C: 0A840D42
	v_mul_f32_e32 v67, v67, v7                                 // 000000004680: 0A860F43
	v_mul_f32_e32 v64, v64, v96                                // 000000004684: 0A80C140
	v_mul_f32_e32 v65, v65, v97                                // 000000004688: 0A82C341
	v_mul_f32_e32 v66, v66, v98                                // 00000000468C: 0A84C542
	v_mul_f32_e32 v67, v67, v99                                // 000000004690: 0A86C743
	v_mul_f32_e64 v4, -v68, s6                                 // 000000004694: D1050004 20000D44
	v_mul_f32_e64 v5, -v69, s6                                 // 00000000469C: D1050005 20000D45
	v_mul_f32_e64 v6, -v70, s6                                 // 0000000046A4: D1050006 20000D46
	v_mul_f32_e64 v7, -v71, s6                                 // 0000000046AC: D1050007 20000D47
	v_exp_f32_e32 v4, v4                                       // 0000000046B4: 7E084104
	v_exp_f32_e32 v5, v5                                       // 0000000046B8: 7E0A4105
	v_exp_f32_e32 v6, v6                                       // 0000000046BC: 7E0C4106
	v_exp_f32_e32 v7, v7                                       // 0000000046C0: 7E0E4107
	v_add_f32_e64 v4, v4, 1.0                                  // 0000000046C4: D1010004 0001E504
	v_add_f32_e64 v5, v5, 1.0                                  // 0000000046CC: D1010005 0001E505
	v_add_f32_e64 v6, v6, 1.0                                  // 0000000046D4: D1010006 0001E506
	v_add_f32_e64 v7, v7, 1.0                                  // 0000000046DC: D1010007 0001E507
	v_rcp_f32_e32 v4, v4                                       // 0000000046E4: 7E084504
	v_rcp_f32_e32 v5, v5                                       // 0000000046E8: 7E0A4505
	v_rcp_f32_e32 v6, v6                                       // 0000000046EC: 7E0C4506
	v_rcp_f32_e32 v7, v7                                       // 0000000046F0: 7E0E4507
	v_mul_f32_e32 v68, v68, v4                                 // 0000000046F4: 0A880944
	v_mul_f32_e32 v69, v69, v5                                 // 0000000046F8: 0A8A0B45
	v_mul_f32_e32 v70, v70, v6                                 // 0000000046FC: 0A8C0D46
	v_mul_f32_e32 v71, v71, v7                                 // 000000004700: 0A8E0F47
	v_mul_f32_e32 v68, v68, v100                               // 000000004704: 0A88C944
	v_mul_f32_e32 v69, v69, v101                               // 000000004708: 0A8ACB45
	v_mul_f32_e32 v70, v70, v102                               // 00000000470C: 0A8CCD46
	v_mul_f32_e32 v71, v71, v103                               // 000000004710: 0A8ECF47
	v_mul_f32_e64 v4, -v72, s6                                 // 000000004714: D1050004 20000D48
	v_mul_f32_e64 v5, -v73, s6                                 // 00000000471C: D1050005 20000D49
	v_mul_f32_e64 v6, -v74, s6                                 // 000000004724: D1050006 20000D4A
	v_mul_f32_e64 v7, -v75, s6                                 // 00000000472C: D1050007 20000D4B
	v_exp_f32_e32 v4, v4                                       // 000000004734: 7E084104
	v_exp_f32_e32 v5, v5                                       // 000000004738: 7E0A4105
	v_exp_f32_e32 v6, v6                                       // 00000000473C: 7E0C4106
	v_exp_f32_e32 v7, v7                                       // 000000004740: 7E0E4107
	v_add_f32_e64 v4, v4, 1.0                                  // 000000004744: D1010004 0001E504
	v_add_f32_e64 v5, v5, 1.0                                  // 00000000474C: D1010005 0001E505
	v_add_f32_e64 v6, v6, 1.0                                  // 000000004754: D1010006 0001E506
	v_add_f32_e64 v7, v7, 1.0                                  // 00000000475C: D1010007 0001E507
	v_rcp_f32_e32 v4, v4                                       // 000000004764: 7E084504
	v_rcp_f32_e32 v5, v5                                       // 000000004768: 7E0A4505
	v_rcp_f32_e32 v6, v6                                       // 00000000476C: 7E0C4506
	v_rcp_f32_e32 v7, v7                                       // 000000004770: 7E0E4507
	v_mul_f32_e32 v72, v72, v4                                 // 000000004774: 0A900948
	v_mul_f32_e32 v73, v73, v5                                 // 000000004778: 0A920B49
	v_mul_f32_e32 v74, v74, v6                                 // 00000000477C: 0A940D4A
	v_mul_f32_e32 v75, v75, v7                                 // 000000004780: 0A960F4B
	v_mul_f32_e32 v72, v72, v104                               // 000000004784: 0A90D148
	v_mul_f32_e32 v73, v73, v105                               // 000000004788: 0A92D349
	v_mul_f32_e32 v74, v74, v106                               // 00000000478C: 0A94D54A
	v_mul_f32_e32 v75, v75, v107                               // 000000004790: 0A96D74B
	v_mul_f32_e64 v4, -v76, s6                                 // 000000004794: D1050004 20000D4C
	v_mul_f32_e64 v5, -v77, s6                                 // 00000000479C: D1050005 20000D4D
	v_mul_f32_e64 v6, -v78, s6                                 // 0000000047A4: D1050006 20000D4E
	v_mul_f32_e64 v7, -v79, s6                                 // 0000000047AC: D1050007 20000D4F
	v_exp_f32_e32 v4, v4                                       // 0000000047B4: 7E084104
	v_exp_f32_e32 v5, v5                                       // 0000000047B8: 7E0A4105
	v_exp_f32_e32 v6, v6                                       // 0000000047BC: 7E0C4106
	v_exp_f32_e32 v7, v7                                       // 0000000047C0: 7E0E4107
	v_add_f32_e64 v4, v4, 1.0                                  // 0000000047C4: D1010004 0001E504
	v_add_f32_e64 v5, v5, 1.0                                  // 0000000047CC: D1010005 0001E505
	v_add_f32_e64 v6, v6, 1.0                                  // 0000000047D4: D1010006 0001E506
	v_add_f32_e64 v7, v7, 1.0                                  // 0000000047DC: D1010007 0001E507
	v_rcp_f32_e32 v4, v4                                       // 0000000047E4: 7E084504
	v_rcp_f32_e32 v5, v5                                       // 0000000047E8: 7E0A4505
	v_rcp_f32_e32 v6, v6                                       // 0000000047EC: 7E0C4506
	v_rcp_f32_e32 v7, v7                                       // 0000000047F0: 7E0E4507
	v_mul_f32_e32 v76, v76, v4                                 // 0000000047F4: 0A98094C
	v_mul_f32_e32 v77, v77, v5                                 // 0000000047F8: 0A9A0B4D
	v_mul_f32_e32 v78, v78, v6                                 // 0000000047FC: 0A9C0D4E
	v_mul_f32_e32 v79, v79, v7                                 // 000000004800: 0A9E0F4F
	v_mul_f32_e32 v76, v76, v108                               // 000000004804: 0A98D94C
	v_mul_f32_e32 v77, v77, v109                               // 000000004808: 0A9ADB4D
	v_mul_f32_e32 v78, v78, v110                               // 00000000480C: 0A9CDD4E
	v_mul_f32_e32 v79, v79, v111                               // 000000004810: 0A9EDF4F
	v_mul_f32_e64 v4, -v80, s6                                 // 000000004814: D1050004 20000D50
	v_mul_f32_e64 v5, -v81, s6                                 // 00000000481C: D1050005 20000D51
	v_mul_f32_e64 v6, -v82, s6                                 // 000000004824: D1050006 20000D52
	v_mul_f32_e64 v7, -v83, s6                                 // 00000000482C: D1050007 20000D53
	v_exp_f32_e32 v4, v4                                       // 000000004834: 7E084104
	v_exp_f32_e32 v5, v5                                       // 000000004838: 7E0A4105
	v_exp_f32_e32 v6, v6                                       // 00000000483C: 7E0C4106
	v_exp_f32_e32 v7, v7                                       // 000000004840: 7E0E4107
	v_add_f32_e64 v4, v4, 1.0                                  // 000000004844: D1010004 0001E504
	v_add_f32_e64 v5, v5, 1.0                                  // 00000000484C: D1010005 0001E505
	v_add_f32_e64 v6, v6, 1.0                                  // 000000004854: D1010006 0001E506
	v_add_f32_e64 v7, v7, 1.0                                  // 00000000485C: D1010007 0001E507
	v_rcp_f32_e32 v4, v4                                       // 000000004864: 7E084504
	v_rcp_f32_e32 v5, v5                                       // 000000004868: 7E0A4505
	v_rcp_f32_e32 v6, v6                                       // 00000000486C: 7E0C4506
	v_rcp_f32_e32 v7, v7                                       // 000000004870: 7E0E4507
	v_mul_f32_e32 v80, v80, v4                                 // 000000004874: 0AA00950
	v_mul_f32_e32 v81, v81, v5                                 // 000000004878: 0AA20B51
	v_mul_f32_e32 v82, v82, v6                                 // 00000000487C: 0AA40D52
	v_mul_f32_e32 v83, v83, v7                                 // 000000004880: 0AA60F53
	v_mul_f32_e32 v80, v80, v112                               // 000000004884: 0AA0E150
	v_mul_f32_e32 v81, v81, v113                               // 000000004888: 0AA2E351
	v_mul_f32_e32 v82, v82, v114                               // 00000000488C: 0AA4E552
	v_mul_f32_e32 v83, v83, v115                               // 000000004890: 0AA6E753
	v_mul_f32_e64 v4, -v84, s6                                 // 000000004894: D1050004 20000D54
	v_mul_f32_e64 v5, -v85, s6                                 // 00000000489C: D1050005 20000D55
	v_mul_f32_e64 v6, -v86, s6                                 // 0000000048A4: D1050006 20000D56
	v_mul_f32_e64 v7, -v87, s6                                 // 0000000048AC: D1050007 20000D57
	v_exp_f32_e32 v4, v4                                       // 0000000048B4: 7E084104
	v_exp_f32_e32 v5, v5                                       // 0000000048B8: 7E0A4105
	v_exp_f32_e32 v6, v6                                       // 0000000048BC: 7E0C4106
	v_exp_f32_e32 v7, v7                                       // 0000000048C0: 7E0E4107
	v_add_f32_e64 v4, v4, 1.0                                  // 0000000048C4: D1010004 0001E504
	v_add_f32_e64 v5, v5, 1.0                                  // 0000000048CC: D1010005 0001E505
	v_add_f32_e64 v6, v6, 1.0                                  // 0000000048D4: D1010006 0001E506
	v_add_f32_e64 v7, v7, 1.0                                  // 0000000048DC: D1010007 0001E507
	v_rcp_f32_e32 v4, v4                                       // 0000000048E4: 7E084504
	v_rcp_f32_e32 v5, v5                                       // 0000000048E8: 7E0A4505
	v_rcp_f32_e32 v6, v6                                       // 0000000048EC: 7E0C4506
	v_rcp_f32_e32 v7, v7                                       // 0000000048F0: 7E0E4507
	v_mul_f32_e32 v84, v84, v4                                 // 0000000048F4: 0AA80954
	v_mul_f32_e32 v85, v85, v5                                 // 0000000048F8: 0AAA0B55
	v_mul_f32_e32 v86, v86, v6                                 // 0000000048FC: 0AAC0D56
	v_mul_f32_e32 v87, v87, v7                                 // 000000004900: 0AAE0F57
	v_mul_f32_e32 v84, v84, v116                               // 000000004904: 0AA8E954
	v_mul_f32_e32 v85, v85, v117                               // 000000004908: 0AAAEB55
	v_mul_f32_e32 v86, v86, v118                               // 00000000490C: 0AACED56
	v_mul_f32_e32 v87, v87, v119                               // 000000004910: 0AAEEF57

0000000000004914 <label_07C5>:
	s_cmp_eq_u32 s7, 0                                         // 000000004914: BF068007
	s_cbranch_scc0 label_07D5                                  // 000000004918: BF84000E
	v_and_b32_e32 v4, 15, v0                                   // 00000000491C: 2608008F
	v_lshlrev_b32_e32 v4, 2, v4                                // 000000004920: 24080882
	buffer_load_dword v28, v4, s[12:15], 0 offen               // 000000004924: E0501000 80031C04
	v_add_u32_e32 v4, 64, v4                                   // 00000000492C: 680808C0
	buffer_load_dword v29, v4, s[12:15], 0 offen               // 000000004930: E0501000 80031D04
	v_add_u32_e32 v4, 64, v4                                   // 000000004938: 680808C0
	buffer_load_dword v30, v4, s[12:15], 0 offen               // 00000000493C: E0501000 80031E04
	v_add_u32_e32 v4, 64, v4                                   // 000000004944: 680808C0
	buffer_load_dword v31, v4, s[12:15], 0 offen               // 000000004948: E0501000 80031F04
	v_add_u32_e32 v4, 64, v4                                   // 000000004950: 680808C0

0000000000004954 <label_07D5>:
	v_lshlrev_b32_e32 v4, 2, v0                                // 000000004954: 24080082
	s_mul_i32 s60, 0x100, s7                                   // 000000004958: 923C07FF 00000100
	v_add_u32_e32 v92, s60, v4                                 // 000000004960: 68B8083C
	v_and_b32_e32 v4, 15, v0                                   // 000000004964: 2608008F
	v_lshlrev_b32_e32 v93, 2, v4                               // 000000004968: 24BA0882
	s_waitcnt lgkmcnt(0)                                       // 00000000496C: BF8CC07F
	s_barrier                                                  // 000000004970: BF8A0000
	v_mov_b32_e32 v88, 0x358637bd                              // 000000004974: 7EB002FF 358637BD
	v_max3_f32 v88, |v56|, |v57|, v88                          // 00000000497C: D1D30358 05627338
	v_max3_f32 v88, |v58|, |v59|, v88                          // 000000004984: D1D30358 0562773A
	v_max3_f32 v88, |v72|, |v73|, v88                          // 00000000498C: D1D30358 05629348
	v_max3_f32 v88, |v74|, |v75|, v88                          // 000000004994: D1D30358 0562974A
	ds_write_b32 v92, v88                                      // 00000000499C: D81A0000 0000585C
	s_waitcnt lgkmcnt(0)                                       // 0000000049A4: BF8CC07F
	s_barrier                                                  // 0000000049A8: BF8A0000
	ds_read_b32 v4, v93                                        // 0000000049AC: D86C0000 0400005D
	ds_read_b32 v5, v93 offset:64                              // 0000000049B4: D86C0040 0500005D
	ds_read_b32 v6, v93 offset:128                             // 0000000049BC: D86C0080 0600005D
	ds_read_b32 v7, v93 offset:192                             // 0000000049C4: D86C00C0 0700005D
	ds_read_b32 v8, v93 offset:256                             // 0000000049CC: D86C0100 0800005D
	ds_read_b32 v9, v93 offset:320                             // 0000000049D4: D86C0140 0900005D
	ds_read_b32 v10, v93 offset:384                            // 0000000049DC: D86C0180 0A00005D
	ds_read_b32 v11, v93 offset:448                            // 0000000049E4: D86C01C0 0B00005D
	ds_read_b32 v12, v93 offset:512                            // 0000000049EC: D86C0200 0C00005D
	ds_read_b32 v13, v93 offset:576                            // 0000000049F4: D86C0240 0D00005D
	ds_read_b32 v14, v93 offset:640                            // 0000000049FC: D86C0280 0E00005D
	ds_read_b32 v15, v93 offset:704                            // 000000004A04: D86C02C0 0F00005D
	ds_read_b32 v16, v93 offset:768                            // 000000004A0C: D86C0300 1000005D
	ds_read_b32 v17, v93 offset:832                            // 000000004A14: D86C0340 1100005D
	ds_read_b32 v18, v93 offset:896                            // 000000004A1C: D86C0380 1200005D
	ds_read_b32 v19, v93 offset:960                            // 000000004A24: D86C03C0 1300005D
	s_waitcnt lgkmcnt(0)                                       // 000000004A2C: BF8CC07F
	s_barrier                                                  // 000000004A30: BF8A0000
	v_max3_f32 v88, |v4|, |v5|, v88                            // 000000004A34: D1D30358 05620B04
	v_max3_f32 v88, |v6|, |v7|, v88                            // 000000004A3C: D1D30358 05620F06
	v_max3_f32 v88, |v8|, |v9|, v88                            // 000000004A44: D1D30358 05621308
	v_max3_f32 v88, |v10|, |v11|, v88                          // 000000004A4C: D1D30358 0562170A
	v_max3_f32 v88, |v12|, |v13|, v88                          // 000000004A54: D1D30358 05621B0C
	v_max3_f32 v88, |v14|, |v15|, v88                          // 000000004A5C: D1D30358 05621F0E
	v_max3_f32 v88, |v16|, |v17|, v88                          // 000000004A64: D1D30358 05622310
	v_max3_f32 v88, |v18|, |v19|, v88                          // 000000004A6C: D1D30358 05622712
	v_rcp_f32_e32 v88, v88                                     // 000000004A74: 7EB04558
	v_mov_b32_e32 v4, 0x43700000                               // 000000004A78: 7E0802FF 43700000
	v_mul_f32_e32 v88, v4, v88                                 // 000000004A80: 0AB0B104
	v_mov_b32_e32 v4, v88                                      // 000000004A84: 7E080358
	v_mov_b32_e32 v5, v4                                       // 000000004A88: 7E0A0304
	v_pk_mul_f32 v[56:57], v[4:5], v[56:57]                    // 000000004A8C: D3B14038 18027104
	v_pk_mul_f32 v[58:59], v[4:5], v[58:59]                    // 000000004A94: D3B1403A 18027504
	v_cvt_pk_fp8_f32 v56, v56, v57                             // 000000004A9C: D2A20038 00027338
	v_cvt_pk_fp8_f32 v56, v58, v59 op_sel:[0,0,1]              // 000000004AA4: D2A24038 0002773A
	v_pk_mul_f32 v[72:73], v[4:5], v[72:73]                    // 000000004AAC: D3B14048 18029104
	v_pk_mul_f32 v[74:75], v[4:5], v[74:75]                    // 000000004AB4: D3B1404A 18029504
	v_cvt_pk_fp8_f32 v72, v72, v73                             // 000000004ABC: D2A20048 00029348
	v_cvt_pk_fp8_f32 v72, v74, v75 op_sel:[0,0,1]              // 000000004AC4: D2A24048 0002974A
	v_rcp_f32_e32 v88, v88                                     // 000000004ACC: 7EB04558
	v_mov_b32_e32 v89, 0x358637bd                              // 000000004AD0: 7EB202FF 358637BD
	v_max3_f32 v89, |v60|, |v61|, v89                          // 000000004AD8: D1D30359 05667B3C
	v_max3_f32 v89, |v62|, |v63|, v89                          // 000000004AE0: D1D30359 05667F3E
	v_max3_f32 v89, |v76|, |v77|, v89                          // 000000004AE8: D1D30359 05669B4C
	v_max3_f32 v89, |v78|, |v79|, v89                          // 000000004AF0: D1D30359 05669F4E
	ds_write_b32 v92, v89                                      // 000000004AF8: D81A0000 0000595C
	s_waitcnt lgkmcnt(0)                                       // 000000004B00: BF8CC07F
	s_barrier                                                  // 000000004B04: BF8A0000
	ds_read_b32 v4, v93                                        // 000000004B08: D86C0000 0400005D
	ds_read_b32 v5, v93 offset:64                              // 000000004B10: D86C0040 0500005D
	ds_read_b32 v6, v93 offset:128                             // 000000004B18: D86C0080 0600005D
	ds_read_b32 v7, v93 offset:192                             // 000000004B20: D86C00C0 0700005D
	ds_read_b32 v8, v93 offset:256                             // 000000004B28: D86C0100 0800005D
	ds_read_b32 v9, v93 offset:320                             // 000000004B30: D86C0140 0900005D
	ds_read_b32 v10, v93 offset:384                            // 000000004B38: D86C0180 0A00005D
	ds_read_b32 v11, v93 offset:448                            // 000000004B40: D86C01C0 0B00005D
	ds_read_b32 v12, v93 offset:512                            // 000000004B48: D86C0200 0C00005D
	ds_read_b32 v13, v93 offset:576                            // 000000004B50: D86C0240 0D00005D
	ds_read_b32 v14, v93 offset:640                            // 000000004B58: D86C0280 0E00005D
	ds_read_b32 v15, v93 offset:704                            // 000000004B60: D86C02C0 0F00005D
	ds_read_b32 v16, v93 offset:768                            // 000000004B68: D86C0300 1000005D
	ds_read_b32 v17, v93 offset:832                            // 000000004B70: D86C0340 1100005D
	ds_read_b32 v18, v93 offset:896                            // 000000004B78: D86C0380 1200005D
	ds_read_b32 v19, v93 offset:960                            // 000000004B80: D86C03C0 1300005D
	s_waitcnt lgkmcnt(0)                                       // 000000004B88: BF8CC07F
	s_barrier                                                  // 000000004B8C: BF8A0000
	v_max3_f32 v89, |v4|, |v5|, v89                            // 000000004B90: D1D30359 05660B04
	v_max3_f32 v89, |v6|, |v7|, v89                            // 000000004B98: D1D30359 05660F06
	v_max3_f32 v89, |v8|, |v9|, v89                            // 000000004BA0: D1D30359 05661308
	v_max3_f32 v89, |v10|, |v11|, v89                          // 000000004BA8: D1D30359 0566170A
	v_max3_f32 v89, |v12|, |v13|, v89                          // 000000004BB0: D1D30359 05661B0C
	v_max3_f32 v89, |v14|, |v15|, v89                          // 000000004BB8: D1D30359 05661F0E
	v_max3_f32 v89, |v16|, |v17|, v89                          // 000000004BC0: D1D30359 05662310
	v_max3_f32 v89, |v18|, |v19|, v89                          // 000000004BC8: D1D30359 05662712
	v_rcp_f32_e32 v89, v89                                     // 000000004BD0: 7EB24559
	v_mov_b32_e32 v4, 0x43700000                               // 000000004BD4: 7E0802FF 43700000
	v_mul_f32_e32 v89, v4, v89                                 // 000000004BDC: 0AB2B304
	v_mov_b32_e32 v4, v89                                      // 000000004BE0: 7E080359
	v_mov_b32_e32 v5, v4                                       // 000000004BE4: 7E0A0304
	v_pk_mul_f32 v[60:61], v[4:5], v[60:61]                    // 000000004BE8: D3B1403C 18027904
	v_pk_mul_f32 v[62:63], v[4:5], v[62:63]                    // 000000004BF0: D3B1403E 18027D04
	v_cvt_pk_fp8_f32 v60, v60, v61                             // 000000004BF8: D2A2003C 00027B3C
	v_cvt_pk_fp8_f32 v60, v62, v63 op_sel:[0,0,1]              // 000000004C00: D2A2403C 00027F3E
	v_pk_mul_f32 v[76:77], v[4:5], v[76:77]                    // 000000004C08: D3B1404C 18029904
	v_pk_mul_f32 v[78:79], v[4:5], v[78:79]                    // 000000004C10: D3B1404E 18029D04
	v_cvt_pk_fp8_f32 v76, v76, v77                             // 000000004C18: D2A2004C 00029B4C
	v_cvt_pk_fp8_f32 v76, v78, v79 op_sel:[0,0,1]              // 000000004C20: D2A2404C 00029F4E
	v_rcp_f32_e32 v89, v89                                     // 000000004C28: 7EB24559
	v_mov_b32_e32 v90, 0x358637bd                              // 000000004C2C: 7EB402FF 358637BD
	v_max3_f32 v90, |v64|, |v65|, v90                          // 000000004C34: D1D3035A 056A8340
	v_max3_f32 v90, |v66|, |v67|, v90                          // 000000004C3C: D1D3035A 056A8742
	v_max3_f32 v90, |v80|, |v81|, v90                          // 000000004C44: D1D3035A 056AA350
	v_max3_f32 v90, |v82|, |v83|, v90                          // 000000004C4C: D1D3035A 056AA752
	ds_write_b32 v92, v90                                      // 000000004C54: D81A0000 00005A5C
	s_waitcnt lgkmcnt(0)                                       // 000000004C5C: BF8CC07F
	s_barrier                                                  // 000000004C60: BF8A0000
	ds_read_b32 v4, v93                                        // 000000004C64: D86C0000 0400005D
	ds_read_b32 v5, v93 offset:64                              // 000000004C6C: D86C0040 0500005D
	ds_read_b32 v6, v93 offset:128                             // 000000004C74: D86C0080 0600005D
	ds_read_b32 v7, v93 offset:192                             // 000000004C7C: D86C00C0 0700005D
	ds_read_b32 v8, v93 offset:256                             // 000000004C84: D86C0100 0800005D
	ds_read_b32 v9, v93 offset:320                             // 000000004C8C: D86C0140 0900005D
	ds_read_b32 v10, v93 offset:384                            // 000000004C94: D86C0180 0A00005D
	ds_read_b32 v11, v93 offset:448                            // 000000004C9C: D86C01C0 0B00005D
	ds_read_b32 v12, v93 offset:512                            // 000000004CA4: D86C0200 0C00005D
	ds_read_b32 v13, v93 offset:576                            // 000000004CAC: D86C0240 0D00005D
	ds_read_b32 v14, v93 offset:640                            // 000000004CB4: D86C0280 0E00005D
	ds_read_b32 v15, v93 offset:704                            // 000000004CBC: D86C02C0 0F00005D
	ds_read_b32 v16, v93 offset:768                            // 000000004CC4: D86C0300 1000005D
	ds_read_b32 v17, v93 offset:832                            // 000000004CCC: D86C0340 1100005D
	ds_read_b32 v18, v93 offset:896                            // 000000004CD4: D86C0380 1200005D
	ds_read_b32 v19, v93 offset:960                            // 000000004CDC: D86C03C0 1300005D
	s_waitcnt lgkmcnt(0)                                       // 000000004CE4: BF8CC07F
	s_barrier                                                  // 000000004CE8: BF8A0000
	v_max3_f32 v90, |v4|, |v5|, v90                            // 000000004CEC: D1D3035A 056A0B04
	v_max3_f32 v90, |v6|, |v7|, v90                            // 000000004CF4: D1D3035A 056A0F06
	v_max3_f32 v90, |v8|, |v9|, v90                            // 000000004CFC: D1D3035A 056A1308
	v_max3_f32 v90, |v10|, |v11|, v90                          // 000000004D04: D1D3035A 056A170A
	v_max3_f32 v90, |v12|, |v13|, v90                          // 000000004D0C: D1D3035A 056A1B0C
	v_max3_f32 v90, |v14|, |v15|, v90                          // 000000004D14: D1D3035A 056A1F0E
	v_max3_f32 v90, |v16|, |v17|, v90                          // 000000004D1C: D1D3035A 056A2310
	v_max3_f32 v90, |v18|, |v19|, v90                          // 000000004D24: D1D3035A 056A2712
	v_rcp_f32_e32 v90, v90                                     // 000000004D2C: 7EB4455A
	v_mov_b32_e32 v4, 0x43700000                               // 000000004D30: 7E0802FF 43700000
	v_mul_f32_e32 v90, v4, v90                                 // 000000004D38: 0AB4B504
	v_mov_b32_e32 v4, v90                                      // 000000004D3C: 7E08035A
	v_mov_b32_e32 v5, v4                                       // 000000004D40: 7E0A0304
	v_pk_mul_f32 v[64:65], v[4:5], v[64:65]                    // 000000004D44: D3B14040 18028104
	v_pk_mul_f32 v[66:67], v[4:5], v[66:67]                    // 000000004D4C: D3B14042 18028504
	v_cvt_pk_fp8_f32 v64, v64, v65                             // 000000004D54: D2A20040 00028340
	v_cvt_pk_fp8_f32 v64, v66, v67 op_sel:[0,0,1]              // 000000004D5C: D2A24040 00028742
	v_pk_mul_f32 v[80:81], v[4:5], v[80:81]                    // 000000004D64: D3B14050 1802A104
	v_pk_mul_f32 v[82:83], v[4:5], v[82:83]                    // 000000004D6C: D3B14052 1802A504
	v_cvt_pk_fp8_f32 v80, v80, v81                             // 000000004D74: D2A20050 0002A350
	v_cvt_pk_fp8_f32 v80, v82, v83 op_sel:[0,0,1]              // 000000004D7C: D2A24050 0002A752
	v_rcp_f32_e32 v90, v90                                     // 000000004D84: 7EB4455A
	v_mov_b32_e32 v91, 0x358637bd                              // 000000004D88: 7EB602FF 358637BD
	v_max3_f32 v91, |v68|, |v69|, v91                          // 000000004D90: D1D3035B 056E8B44
	v_max3_f32 v91, |v70|, |v71|, v91                          // 000000004D98: D1D3035B 056E8F46
	v_max3_f32 v91, |v84|, |v85|, v91                          // 000000004DA0: D1D3035B 056EAB54
	v_max3_f32 v91, |v86|, |v87|, v91                          // 000000004DA8: D1D3035B 056EAF56
	ds_write_b32 v92, v91                                      // 000000004DB0: D81A0000 00005B5C
	s_waitcnt lgkmcnt(0)                                       // 000000004DB8: BF8CC07F
	s_barrier                                                  // 000000004DBC: BF8A0000
	ds_read_b32 v4, v93                                        // 000000004DC0: D86C0000 0400005D
	ds_read_b32 v5, v93 offset:64                              // 000000004DC8: D86C0040 0500005D
	ds_read_b32 v6, v93 offset:128                             // 000000004DD0: D86C0080 0600005D
	ds_read_b32 v7, v93 offset:192                             // 000000004DD8: D86C00C0 0700005D
	ds_read_b32 v8, v93 offset:256                             // 000000004DE0: D86C0100 0800005D
	ds_read_b32 v9, v93 offset:320                             // 000000004DE8: D86C0140 0900005D
	ds_read_b32 v10, v93 offset:384                            // 000000004DF0: D86C0180 0A00005D
	ds_read_b32 v11, v93 offset:448                            // 000000004DF8: D86C01C0 0B00005D
	ds_read_b32 v12, v93 offset:512                            // 000000004E00: D86C0200 0C00005D
	ds_read_b32 v13, v93 offset:576                            // 000000004E08: D86C0240 0D00005D
	ds_read_b32 v14, v93 offset:640                            // 000000004E10: D86C0280 0E00005D
	ds_read_b32 v15, v93 offset:704                            // 000000004E18: D86C02C0 0F00005D
	ds_read_b32 v16, v93 offset:768                            // 000000004E20: D86C0300 1000005D
	ds_read_b32 v17, v93 offset:832                            // 000000004E28: D86C0340 1100005D
	ds_read_b32 v18, v93 offset:896                            // 000000004E30: D86C0380 1200005D
	ds_read_b32 v19, v93 offset:960                            // 000000004E38: D86C03C0 1300005D
	s_waitcnt lgkmcnt(0)                                       // 000000004E40: BF8CC07F
	s_barrier                                                  // 000000004E44: BF8A0000
	v_max3_f32 v91, |v4|, |v5|, v91                            // 000000004E48: D1D3035B 056E0B04
	v_max3_f32 v91, |v6|, |v7|, v91                            // 000000004E50: D1D3035B 056E0F06
	v_max3_f32 v91, |v8|, |v9|, v91                            // 000000004E58: D1D3035B 056E1308
	v_max3_f32 v91, |v10|, |v11|, v91                          // 000000004E60: D1D3035B 056E170A
	v_max3_f32 v91, |v12|, |v13|, v91                          // 000000004E68: D1D3035B 056E1B0C
	v_max3_f32 v91, |v14|, |v15|, v91                          // 000000004E70: D1D3035B 056E1F0E
	v_max3_f32 v91, |v16|, |v17|, v91                          // 000000004E78: D1D3035B 056E2310
	v_max3_f32 v91, |v18|, |v19|, v91                          // 000000004E80: D1D3035B 056E2712
	v_rcp_f32_e32 v91, v91                                     // 000000004E88: 7EB6455B
	v_mov_b32_e32 v4, 0x43700000                               // 000000004E8C: 7E0802FF 43700000
	v_mul_f32_e32 v91, v4, v91                                 // 000000004E94: 0AB6B704
	v_mov_b32_e32 v4, v91                                      // 000000004E98: 7E08035B
	v_mov_b32_e32 v5, v4                                       // 000000004E9C: 7E0A0304
	v_pk_mul_f32 v[68:69], v[4:5], v[68:69]                    // 000000004EA0: D3B14044 18028904
	v_pk_mul_f32 v[70:71], v[4:5], v[70:71]                    // 000000004EA8: D3B14046 18028D04
	v_cvt_pk_fp8_f32 v68, v68, v69                             // 000000004EB0: D2A20044 00028B44
	v_cvt_pk_fp8_f32 v68, v70, v71 op_sel:[0,0,1]              // 000000004EB8: D2A24044 00028F46
	v_pk_mul_f32 v[84:85], v[4:5], v[84:85]                    // 000000004EC0: D3B14054 1802A904
	v_pk_mul_f32 v[86:87], v[4:5], v[86:87]                    // 000000004EC8: D3B14056 1802AD04
	v_cvt_pk_fp8_f32 v84, v84, v85                             // 000000004ED0: D2A20054 0002AB54
	v_cvt_pk_fp8_f32 v84, v86, v87 op_sel:[0,0,1]              // 000000004ED8: D2A24054 0002AF56
	v_rcp_f32_e32 v91, v91                                     // 000000004EE0: 7EB6455B
	v_lshrrev_b32_e32 v4, 5, v0                                // 000000004EE4: 20080085
	v_mul_lo_u32 v20, 34, v4                                   // 000000004EE8: D2850014 000208A2
	v_and_b32_e32 v4, 31, v0                                   // 000000004EF0: 2608009F
	v_lshrrev_b32_e32 v5, 4, v4                                // 000000004EF4: 200A0884
	v_add_u32_e32 v20, v5, v20                                 // 000000004EF8: 68282905
	v_and_b32_e32 v4, 15, v0                                   // 000000004EFC: 2608008F
	v_mul_lo_u32 v5, 2, v4                                     // 000000004F00: D2850005 00020882
	v_add_u32_e32 v20, v5, v20                                 // 000000004F08: 68282905
	s_mul_i32 s60, s7, 0x44                                    // 000000004F0C: 923CFF07 00000044
	v_add_u32_e32 v20, s60, v20                                // 000000004F14: 6828283C
	v_lshlrev_b32_e32 v20, 2, v20                              // 000000004F18: 24282882
	ds_write_b32 v20, v56                                      // 000000004F1C: D81A0000 00003814
	ds_write_b32 v20, v60 offset:2176                          // 000000004F24: D81A0880 00003C14
	ds_write_b32 v20, v64 offset:4352                          // 000000004F2C: D81A1100 00004014
	ds_write_b32 v20, v68 offset:6528                          // 000000004F34: D81A1980 00004414
	ds_write_b32 v20, v72 offset:1088                          // 000000004F3C: D81A0440 00004814
	ds_write_b32 v20, v76 offset:3264                          // 000000004F44: D81A0CC0 00004C14
	ds_write_b32 v20, v80 offset:5440                          // 000000004F4C: D81A1540 00005014
	ds_write_b32 v20, v84 offset:7616                          // 000000004F54: D81A1DC0 00005414
	v_lshrrev_b32_e32 v4, 5, v0                                // 000000004F5C: 20080085
	v_xor_b32_e32 v5, 1, v4                                    // 000000004F60: 2A0A0881
	s_mul_i32 s60, s65, 1                                      // 000000004F64: 923C8141
	s_cmp_eq_u32 s88, 0                                        // 000000004F68: BF068058
	s_cselect_b32 s61, 1, 8                                    // 000000004F6C: 853D8881
	s_mul_i32 s60, s61, s60                                    // 000000004F70: 923C3C3D
	v_readlane_b32 s82, v3, 0                                  // 000000004F74: D2890052 00010103
	s_lshr_b32 s61, s82, 24                                    // 000000004F7C: 8F3D9852
	s_and_b32 s82, s82, 0xffffff                               // 000000004F80: 8652FF52 00FFFFFF
	s_mul_i32 s82, s82, s71                                    // 000000004F88: 92524752
	s_mul_i32 s61, s60, s61                                    // 000000004F8C: 923D3D3C
	s_add_u32 s82, s82, s61                                    // 000000004F90: 80523D52
	v_mul_lo_u32 v6, v5, s82                                   // 000000004F94: D2850006 0000A505
	v_readlane_b32 s82, v3, 1                                  // 000000004F9C: D2890052 00010303
	s_lshr_b32 s61, s82, 24                                    // 000000004FA4: 8F3D9852
	s_and_b32 s82, s82, 0xffffff                               // 000000004FA8: 8652FF52 00FFFFFF
	s_mul_i32 s82, s82, s71                                    // 000000004FB0: 92524752
	s_mul_i32 s61, s60, s61                                    // 000000004FB4: 923D3D3C
	s_add_u32 s82, s82, s61                                    // 000000004FB8: 80523D52
	v_mul_lo_u32 v7, v4, s82                                   // 000000004FBC: D2850007 0000A504
	v_add_u32_e32 v44, v6, v7                                  // 000000004FC4: 68580F06
	v_readlane_b32 s82, v3, 2                                  // 000000004FC8: D2890052 00010503
	s_lshr_b32 s61, s82, 24                                    // 000000004FD0: 8F3D9852
	s_and_b32 s82, s82, 0xffffff                               // 000000004FD4: 8652FF52 00FFFFFF
	s_mul_i32 s82, s82, s71                                    // 000000004FDC: 92524752
	s_mul_i32 s61, s60, s61                                    // 000000004FE0: 923D3D3C
	s_add_u32 s82, s82, s61                                    // 000000004FE4: 80523D52
	v_mul_lo_u32 v6, v5, s82                                   // 000000004FE8: D2850006 0000A505
	v_readlane_b32 s82, v3, 3                                  // 000000004FF0: D2890052 00010703
	s_lshr_b32 s61, s82, 24                                    // 000000004FF8: 8F3D9852
	s_and_b32 s82, s82, 0xffffff                               // 000000004FFC: 8652FF52 00FFFFFF
	s_mul_i32 s82, s82, s71                                    // 000000005004: 92524752
	s_mul_i32 s61, s60, s61                                    // 000000005008: 923D3D3C
	s_add_u32 s82, s82, s61                                    // 00000000500C: 80523D52
	v_mul_lo_u32 v7, v4, s82                                   // 000000005010: D2850007 0000A504
	v_add_u32_e32 v45, v6, v7                                  // 000000005018: 685A0F06
	v_readlane_b32 s82, v3, 4                                  // 00000000501C: D2890052 00010903
	s_lshr_b32 s61, s82, 24                                    // 000000005024: 8F3D9852
	s_and_b32 s82, s82, 0xffffff                               // 000000005028: 8652FF52 00FFFFFF
	s_mul_i32 s82, s82, s71                                    // 000000005030: 92524752
	s_mul_i32 s61, s60, s61                                    // 000000005034: 923D3D3C
	s_add_u32 s82, s82, s61                                    // 000000005038: 80523D52
	v_mul_lo_u32 v6, v5, s82                                   // 00000000503C: D2850006 0000A505
	v_readlane_b32 s82, v3, 5                                  // 000000005044: D2890052 00010B03
	s_lshr_b32 s61, s82, 24                                    // 00000000504C: 8F3D9852
	s_and_b32 s82, s82, 0xffffff                               // 000000005050: 8652FF52 00FFFFFF
	s_mul_i32 s82, s82, s71                                    // 000000005058: 92524752
	s_mul_i32 s61, s60, s61                                    // 00000000505C: 923D3D3C
	s_add_u32 s82, s82, s61                                    // 000000005060: 80523D52
	v_mul_lo_u32 v7, v4, s82                                   // 000000005064: D2850007 0000A504
	v_add_u32_e32 v46, v6, v7                                  // 00000000506C: 685C0F06
	v_readlane_b32 s82, v3, 6                                  // 000000005070: D2890052 00010D03
	s_lshr_b32 s61, s82, 24                                    // 000000005078: 8F3D9852
	s_and_b32 s82, s82, 0xffffff                               // 00000000507C: 8652FF52 00FFFFFF
	s_mul_i32 s82, s82, s71                                    // 000000005084: 92524752
	s_mul_i32 s61, s60, s61                                    // 000000005088: 923D3D3C
	s_add_u32 s82, s82, s61                                    // 00000000508C: 80523D52
	v_mul_lo_u32 v6, v5, s82                                   // 000000005090: D2850006 0000A505
	v_readlane_b32 s82, v3, 7                                  // 000000005098: D2890052 00010F03
	s_lshr_b32 s61, s82, 24                                    // 0000000050A0: 8F3D9852
	s_and_b32 s82, s82, 0xffffff                               // 0000000050A4: 8652FF52 00FFFFFF
	s_mul_i32 s82, s82, s71                                    // 0000000050AC: 92524752
	s_mul_i32 s61, s60, s61                                    // 0000000050B0: 923D3D3C
	s_add_u32 s82, s82, s61                                    // 0000000050B4: 80523D52
	v_mul_lo_u32 v7, v4, s82                                   // 0000000050B8: D2850007 0000A504
	v_add_u32_e32 v47, v6, v7                                  // 0000000050C0: 685E0F06
	v_readlane_b32 s82, v3, 8                                  // 0000000050C4: D2890052 00011103
	s_lshr_b32 s61, s82, 24                                    // 0000000050CC: 8F3D9852
	s_and_b32 s82, s82, 0xffffff                               // 0000000050D0: 8652FF52 00FFFFFF
	s_mul_i32 s82, s82, s71                                    // 0000000050D8: 92524752
	s_mul_i32 s61, s60, s61                                    // 0000000050DC: 923D3D3C
	s_add_u32 s82, s82, s61                                    // 0000000050E0: 80523D52
	v_mul_lo_u32 v6, v5, s82                                   // 0000000050E4: D2850006 0000A505
	v_readlane_b32 s82, v3, 9                                  // 0000000050EC: D2890052 00011303
	s_lshr_b32 s61, s82, 24                                    // 0000000050F4: 8F3D9852
	s_and_b32 s82, s82, 0xffffff                               // 0000000050F8: 8652FF52 00FFFFFF
	s_mul_i32 s82, s82, s71                                    // 000000005100: 92524752
	s_mul_i32 s61, s60, s61                                    // 000000005104: 923D3D3C
	s_add_u32 s82, s82, s61                                    // 000000005108: 80523D52
	v_mul_lo_u32 v7, v4, s82                                   // 00000000510C: D2850007 0000A504
	v_add_u32_e32 v48, v6, v7                                  // 000000005114: 68600F06
	v_readlane_b32 s82, v3, 10                                 // 000000005118: D2890052 00011503
	s_lshr_b32 s61, s82, 24                                    // 000000005120: 8F3D9852
	s_and_b32 s82, s82, 0xffffff                               // 000000005124: 8652FF52 00FFFFFF
	s_mul_i32 s82, s82, s71                                    // 00000000512C: 92524752
	s_mul_i32 s61, s60, s61                                    // 000000005130: 923D3D3C
	s_add_u32 s82, s82, s61                                    // 000000005134: 80523D52
	v_mul_lo_u32 v6, v5, s82                                   // 000000005138: D2850006 0000A505
	v_readlane_b32 s82, v3, 11                                 // 000000005140: D2890052 00011703
	s_lshr_b32 s61, s82, 24                                    // 000000005148: 8F3D9852
	s_and_b32 s82, s82, 0xffffff                               // 00000000514C: 8652FF52 00FFFFFF
	s_mul_i32 s82, s82, s71                                    // 000000005154: 92524752
	s_mul_i32 s61, s60, s61                                    // 000000005158: 923D3D3C
	s_add_u32 s82, s82, s61                                    // 00000000515C: 80523D52
	v_mul_lo_u32 v7, v4, s82                                   // 000000005160: D2850007 0000A504
	v_add_u32_e32 v49, v6, v7                                  // 000000005168: 68620F06
	v_readlane_b32 s82, v3, 12                                 // 00000000516C: D2890052 00011903
	s_lshr_b32 s61, s82, 24                                    // 000000005174: 8F3D9852
	s_and_b32 s82, s82, 0xffffff                               // 000000005178: 8652FF52 00FFFFFF
	s_mul_i32 s82, s82, s71                                    // 000000005180: 92524752
	s_mul_i32 s61, s60, s61                                    // 000000005184: 923D3D3C
	s_add_u32 s82, s82, s61                                    // 000000005188: 80523D52
	v_mul_lo_u32 v6, v5, s82                                   // 00000000518C: D2850006 0000A505
	v_readlane_b32 s82, v3, 13                                 // 000000005194: D2890052 00011B03
	s_lshr_b32 s61, s82, 24                                    // 00000000519C: 8F3D9852
	s_and_b32 s82, s82, 0xffffff                               // 0000000051A0: 8652FF52 00FFFFFF
	s_mul_i32 s82, s82, s71                                    // 0000000051A8: 92524752
	s_mul_i32 s61, s60, s61                                    // 0000000051AC: 923D3D3C
	s_add_u32 s82, s82, s61                                    // 0000000051B0: 80523D52
	v_mul_lo_u32 v7, v4, s82                                   // 0000000051B4: D2850007 0000A504
	v_add_u32_e32 v50, v6, v7                                  // 0000000051BC: 68640F06
	v_readlane_b32 s82, v3, 14                                 // 0000000051C0: D2890052 00011D03
	s_lshr_b32 s61, s82, 24                                    // 0000000051C8: 8F3D9852
	s_and_b32 s82, s82, 0xffffff                               // 0000000051CC: 8652FF52 00FFFFFF
	s_mul_i32 s82, s82, s71                                    // 0000000051D4: 92524752
	s_mul_i32 s61, s60, s61                                    // 0000000051D8: 923D3D3C
	s_add_u32 s82, s82, s61                                    // 0000000051DC: 80523D52
	v_mul_lo_u32 v6, v5, s82                                   // 0000000051E0: D2850006 0000A505
	v_readlane_b32 s82, v3, 15                                 // 0000000051E8: D2890052 00011F03
	s_lshr_b32 s61, s82, 24                                    // 0000000051F0: 8F3D9852
	s_and_b32 s82, s82, 0xffffff                               // 0000000051F4: 8652FF52 00FFFFFF
	s_mul_i32 s82, s82, s71                                    // 0000000051FC: 92524752
	s_mul_i32 s61, s60, s61                                    // 000000005200: 923D3D3C
	s_add_u32 s82, s82, s61                                    // 000000005204: 80523D52
	v_mul_lo_u32 v7, v4, s82                                   // 000000005208: D2850007 0000A504
	v_add_u32_e32 v51, v6, v7                                  // 000000005210: 68660F06
	v_and_b32_e32 v4, 31, v0                                   // 000000005214: 2608009F
	v_lshrrev_b32_e32 v4, 1, v4                                // 000000005218: 20080881
	s_cmp_eq_u32 s88, 0                                        // 00000000521C: BF068058
	s_cselect_b32 s61, 2, 4                                    // 000000005220: 853D8482
	v_mul_lo_u32 v4, v4, s61                                   // 000000005224: D2850004 00007B04
	v_and_b32_e64 v5, v0, 1                                    // 00000000522C: D1130005 00010300
	v_add_u32_e32 v4, v4, v5                                   // 000000005234: 68080B04
	v_lshlrev_b32_e32 v4, 2, v4                                // 000000005238: 24080882
	v_add_u32_e32 v44, v44, v4                                 // 00000000523C: 6858092C
	v_add_u32_e32 v45, v45, v4                                 // 000000005240: 685A092D
	v_add_u32_e32 v46, v46, v4                                 // 000000005244: 685C092E
	v_add_u32_e32 v47, v47, v4                                 // 000000005248: 685E092F
	v_add_u32_e32 v48, v48, v4                                 // 00000000524C: 68600930
	v_add_u32_e32 v49, v49, v4                                 // 000000005250: 68620931
	v_add_u32_e32 v50, v50, v4                                 // 000000005254: 68640932
	;; [unrolled: 1-line block ×3, first 2 shown]
	s_waitcnt lgkmcnt(0)                                       // 00000000525C: BF8CC07F
	s_barrier                                                  // 000000005260: BF8A0000
	ds_read_b32 v56, v21                                       // 000000005264: D86C0000 38000015
	ds_read_b32 v57, v21 offset:64                             // 00000000526C: D86C0040 39000015
	ds_read_b32 v58, v21 offset:2176                           // 000000005274: D86C0880 3A000015
	ds_read_b32 v59, v21 offset:2240                           // 00000000527C: D86C08C0 3B000015
	ds_read_b32 v60, v21 offset:4352                           // 000000005284: D86C1100 3C000015
	ds_read_b32 v61, v21 offset:4416                           // 00000000528C: D86C1140 3D000015
	ds_read_b32 v62, v21 offset:6528                           // 000000005294: D86C1980 3E000015
	ds_read_b32 v63, v21 offset:6592                           // 00000000529C: D86C19C0 3F000015
	s_waitcnt lgkmcnt(0)                                       // 0000000052A4: BF8CC07F
	s_mov_b32 s36, -1                                          // 0000000052A8: BEA400C1
	s_mov_b32 s37, -1                                          // 0000000052AC: BEA500C1
	v_mov_b32_e32 v7, 0                                        // 0000000052B0: 7E0E0280
	s_or_b32 s9, s9, 0x40000                                   // 0000000052B4: 8709FF09 00040000
	s_mov_b64 exec, s[36:37]                                   // 0000000052BC: BEFE0124
	v_mov_b32_e32 v6, v44                                      // 0000000052C0: 7E0C032C
	s_mov_b64 s[60:61], 0                                      // 0000000052C4: BEBC0180
	v_readlane_b32 s82, v3, 0                                  // 0000000052C8: D2890052 00010103
	s_and_b32 s82, s82, 0xffffff                               // 0000000052D0: 8652FF52 00FFFFFF
	s_cmp_lt_u32 s82, s66                                      // 0000000052D8: BF0A4252
	s_cselect_b32 s20, s36, s60                                // 0000000052DC: 85143C24
	v_readlane_b32 s82, v3, 1                                  // 0000000052E0: D2890052 00010303
	s_and_b32 s82, s82, 0xffffff                               // 0000000052E8: 8652FF52 00FFFFFF
	s_cmp_lt_u32 s82, s66                                      // 0000000052F0: BF0A4252
	s_cselect_b32 s21, s36, s60                                // 0000000052F4: 85153C24
	s_mov_b64 exec, s[20:21]                                   // 0000000052F8: BEFE0114
	buffer_store_dword v56, v6, s[8:11], 0 offen               // 0000000052FC: E0701000 80023806
	s_mov_b64 exec, s[36:37]                                   // 000000005304: BEFE0124
	v_mov_b32_e32 v6, v45                                      // 000000005308: 7E0C032D
	s_mov_b64 s[60:61], 0                                      // 00000000530C: BEBC0180
	v_readlane_b32 s82, v3, 2                                  // 000000005310: D2890052 00010503
	s_and_b32 s82, s82, 0xffffff                               // 000000005318: 8652FF52 00FFFFFF
	s_cmp_lt_u32 s82, s66                                      // 000000005320: BF0A4252
	s_cselect_b32 s20, s36, s60                                // 000000005324: 85143C24
	v_readlane_b32 s82, v3, 3                                  // 000000005328: D2890052 00010703
	s_and_b32 s82, s82, 0xffffff                               // 000000005330: 8652FF52 00FFFFFF
	s_cmp_lt_u32 s82, s66                                      // 000000005338: BF0A4252
	s_cselect_b32 s21, s36, s60                                // 00000000533C: 85153C24
	s_mov_b64 exec, s[20:21]                                   // 000000005340: BEFE0114
	buffer_store_dword v57, v6, s[8:11], 0 offen               // 000000005344: E0701000 80023906
	s_mov_b64 exec, s[36:37]                                   // 00000000534C: BEFE0124
	v_mov_b32_e32 v6, v46                                      // 000000005350: 7E0C032E
	s_mov_b64 s[60:61], 0                                      // 000000005354: BEBC0180
	v_readlane_b32 s82, v3, 4                                  // 000000005358: D2890052 00010903
	s_and_b32 s82, s82, 0xffffff                               // 000000005360: 8652FF52 00FFFFFF
	s_cmp_lt_u32 s82, s66                                      // 000000005368: BF0A4252
	s_cselect_b32 s20, s36, s60                                // 00000000536C: 85143C24
	v_readlane_b32 s82, v3, 5                                  // 000000005370: D2890052 00010B03
	s_and_b32 s82, s82, 0xffffff                               // 000000005378: 8652FF52 00FFFFFF
	s_cmp_lt_u32 s82, s66                                      // 000000005380: BF0A4252
	s_cselect_b32 s21, s36, s60                                // 000000005384: 85153C24
	s_mov_b64 exec, s[20:21]                                   // 000000005388: BEFE0114
	buffer_store_dword v58, v6, s[8:11], 0 offen               // 00000000538C: E0701000 80023A06
	s_mov_b64 exec, s[36:37]                                   // 000000005394: BEFE0124
	v_mov_b32_e32 v6, v47                                      // 000000005398: 7E0C032F
	s_mov_b64 s[60:61], 0                                      // 00000000539C: BEBC0180
	v_readlane_b32 s82, v3, 6                                  // 0000000053A0: D2890052 00010D03
	s_and_b32 s82, s82, 0xffffff                               // 0000000053A8: 8652FF52 00FFFFFF
	s_cmp_lt_u32 s82, s66                                      // 0000000053B0: BF0A4252
	s_cselect_b32 s20, s36, s60                                // 0000000053B4: 85143C24
	v_readlane_b32 s82, v3, 7                                  // 0000000053B8: D2890052 00010F03
	s_and_b32 s82, s82, 0xffffff                               // 0000000053C0: 8652FF52 00FFFFFF
	s_cmp_lt_u32 s82, s66                                      // 0000000053C8: BF0A4252
	s_cselect_b32 s21, s36, s60                                // 0000000053CC: 85153C24
	s_mov_b64 exec, s[20:21]                                   // 0000000053D0: BEFE0114
	buffer_store_dword v59, v6, s[8:11], 0 offen               // 0000000053D4: E0701000 80023B06
	s_mov_b64 exec, s[36:37]                                   // 0000000053DC: BEFE0124
	v_mov_b32_e32 v6, v48                                      // 0000000053E0: 7E0C0330
	s_mov_b64 s[60:61], 0                                      // 0000000053E4: BEBC0180
	v_readlane_b32 s82, v3, 8                                  // 0000000053E8: D2890052 00011103
	s_and_b32 s82, s82, 0xffffff                               // 0000000053F0: 8652FF52 00FFFFFF
	s_cmp_lt_u32 s82, s66                                      // 0000000053F8: BF0A4252
	s_cselect_b32 s20, s36, s60                                // 0000000053FC: 85143C24
	v_readlane_b32 s82, v3, 9                                  // 000000005400: D2890052 00011303
	s_and_b32 s82, s82, 0xffffff                               // 000000005408: 8652FF52 00FFFFFF
	s_cmp_lt_u32 s82, s66                                      // 000000005410: BF0A4252
	s_cselect_b32 s21, s36, s60                                // 000000005414: 85153C24
	s_mov_b64 exec, s[20:21]                                   // 000000005418: BEFE0114
	buffer_store_dword v60, v6, s[8:11], 0 offen               // 00000000541C: E0701000 80023C06
	s_mov_b64 exec, s[36:37]                                   // 000000005424: BEFE0124
	v_mov_b32_e32 v6, v49                                      // 000000005428: 7E0C0331
	s_mov_b64 s[60:61], 0                                      // 00000000542C: BEBC0180
	v_readlane_b32 s82, v3, 10                                 // 000000005430: D2890052 00011503
	s_and_b32 s82, s82, 0xffffff                               // 000000005438: 8652FF52 00FFFFFF
	s_cmp_lt_u32 s82, s66                                      // 000000005440: BF0A4252
	s_cselect_b32 s20, s36, s60                                // 000000005444: 85143C24
	v_readlane_b32 s82, v3, 11                                 // 000000005448: D2890052 00011703
	s_and_b32 s82, s82, 0xffffff                               // 000000005450: 8652FF52 00FFFFFF
	s_cmp_lt_u32 s82, s66                                      // 000000005458: BF0A4252
	s_cselect_b32 s21, s36, s60                                // 00000000545C: 85153C24
	s_mov_b64 exec, s[20:21]                                   // 000000005460: BEFE0114
	buffer_store_dword v61, v6, s[8:11], 0 offen               // 000000005464: E0701000 80023D06
	s_mov_b64 exec, s[36:37]                                   // 00000000546C: BEFE0124
	v_mov_b32_e32 v6, v50                                      // 000000005470: 7E0C0332
	s_mov_b64 s[60:61], 0                                      // 000000005474: BEBC0180
	v_readlane_b32 s82, v3, 12                                 // 000000005478: D2890052 00011903
	s_and_b32 s82, s82, 0xffffff                               // 000000005480: 8652FF52 00FFFFFF
	s_cmp_lt_u32 s82, s66                                      // 000000005488: BF0A4252
	s_cselect_b32 s20, s36, s60                                // 00000000548C: 85143C24
	v_readlane_b32 s82, v3, 13                                 // 000000005490: D2890052 00011B03
	s_and_b32 s82, s82, 0xffffff                               // 000000005498: 8652FF52 00FFFFFF
	s_cmp_lt_u32 s82, s66                                      // 0000000054A0: BF0A4252
	s_cselect_b32 s21, s36, s60                                // 0000000054A4: 85153C24
	s_mov_b64 exec, s[20:21]                                   // 0000000054A8: BEFE0114
	buffer_store_dword v62, v6, s[8:11], 0 offen               // 0000000054AC: E0701000 80023E06
	s_mov_b64 exec, s[36:37]                                   // 0000000054B4: BEFE0124
	v_mov_b32_e32 v6, v51                                      // 0000000054B8: 7E0C0333
	s_mov_b64 s[60:61], 0                                      // 0000000054BC: BEBC0180
	v_readlane_b32 s82, v3, 14                                 // 0000000054C0: D2890052 00011D03
	s_and_b32 s82, s82, 0xffffff                               // 0000000054C8: 8652FF52 00FFFFFF
	s_cmp_lt_u32 s82, s66                                      // 0000000054D0: BF0A4252
	s_cselect_b32 s20, s36, s60                                // 0000000054D4: 85143C24
	v_readlane_b32 s82, v3, 15                                 // 0000000054D8: D2890052 00011F03
	s_and_b32 s82, s82, 0xffffff                               // 0000000054E0: 8652FF52 00FFFFFF
	s_cmp_lt_u32 s82, s66                                      // 0000000054E8: BF0A4252
	s_cselect_b32 s21, s36, s60                                // 0000000054EC: 85153C24
	s_mov_b64 exec, s[20:21]                                   // 0000000054F0: BEFE0114
	buffer_store_dword v63, v6, s[8:11], 0 offen               // 0000000054F4: E0701000 80023F06
	s_mov_b64 exec, s[36:37]                                   // 0000000054FC: BEFE0124
	s_cmp_eq_u32 s7, 0                                         // 000000005500: BF068007
	s_cbranch_scc0 label_1BC2                                  // 000000005504: BF8410FD
	s_waitcnt vmcnt(8)                                         // 000000005508: BF8C0F78
	s_mov_b32 s8, s90                                          // 00000000550C: BE88005A
	s_mov_b32 s9, s91                                          // 000000005510: BE89005B
	s_mul_i32 s60, s66, s71                                    // 000000005514: 923C4742
	s_add_u32 s8, s60, s8                                      // 000000005518: 8008083C
	s_addc_u32 s9, 0, s9                                       // 00000000551C: 82090980
	s_lshr_b32 s71, s71, 5                                     // 000000005520: 8F478547
	s_mul_i32 s60, s66, s71                                    // 000000005524: 923C4742
	s_mov_b32 s10, s60                                         // 000000005528: BE8A003C
	s_lshr_b32 s61, s65, 5                                     // 00000000552C: 8F3D8541
	s_mul_i32 s60, s2, 4                                       // 000000005530: 923C8402
	v_lshrrev_b32_e32 v4, 24, v28                              // 000000005534: 20083898
	v_mul_lo_u32 v4, s61, v4                                   // 000000005538: D2850004 0002083D
	v_and_b32_e32 v28, 0xffffff, v28                           // 000000005540: 263838FF 00FFFFFF
	v_mul_lo_u32 v28, s71, v28                                 // 000000005548: D285001C 00023847
	v_add_u32_e32 v28, v4, v28                                 // 000000005550: 68383904
	v_add_u32_e32 v28, s60, v28                                // 000000005554: 6838383C
	v_lshrrev_b32_e32 v4, 24, v29                              // 000000005558: 20083A98
	v_mul_lo_u32 v4, s61, v4                                   // 00000000555C: D2850004 0002083D
	v_and_b32_e32 v29, 0xffffff, v29                           // 000000005564: 263A3AFF 00FFFFFF
	v_mul_lo_u32 v29, s71, v29                                 // 00000000556C: D285001D 00023A47
	v_add_u32_e32 v29, v4, v29                                 // 000000005574: 683A3B04
	v_add_u32_e32 v29, s60, v29                                // 000000005578: 683A3A3C
	v_lshrrev_b32_e32 v4, 24, v30                              // 00000000557C: 20083C98
	v_mul_lo_u32 v4, s61, v4                                   // 000000005580: D2850004 0002083D
	v_and_b32_e32 v30, 0xffffff, v30                           // 000000005588: 263C3CFF 00FFFFFF
	v_mul_lo_u32 v30, s71, v30                                 // 000000005590: D285001E 00023C47
	v_add_u32_e32 v30, v4, v30                                 // 000000005598: 683C3D04
	v_add_u32_e32 v30, s60, v30                                // 00000000559C: 683C3C3C
	v_lshrrev_b32_e32 v4, 24, v31                              // 0000000055A0: 20083E98
	v_mul_lo_u32 v4, s61, v4                                   // 0000000055A4: D2850004 0002083D
	v_and_b32_e32 v31, 0xffffff, v31                           // 0000000055AC: 263E3EFF 00FFFFFF
	v_mul_lo_u32 v31, s71, v31                                 // 0000000055B4: D285001F 00023E47
	v_add_u32_e32 v31, v4, v31                                 // 0000000055BC: 683E3F04
	v_add_u32_e32 v31, s60, v31                                // 0000000055C0: 683E3E3C
	s_mov_b64 exec, 0xffff                                     // 0000000055C4: BEFE01FF 0000FFFF
	buffer_store_dword v88, v28, s[8:11], 0 offen              // 0000000055CC: E0701000 8002581C
	buffer_store_dword v89, v29, s[8:11], 0 offen              // 0000000055D4: E0701000 8002591D
	buffer_store_dword v90, v30, s[8:11], 0 offen              // 0000000055DC: E0701000 80025A1E
	buffer_store_dword v91, v31, s[8:11], 0 offen              // 0000000055E4: E0701000 80025B1F
	s_mov_b64 exec, s[36:37]                                   // 0000000055EC: BEFE0124
	s_branch label_1BC2                                        // 0000000055F0: BF8210C2

00000000000055f4 <label_0AFD>:
	ds_write_b64 v20, v[56:57]                                 // 0000000055F4: D89A0000 00003814
	ds_write_b64 v20, v[60:61] offset:4352                     // 0000000055FC: D89A1100 00003C14
	ds_write_b64 v20, v[64:65] offset:8704                     // 000000005604: D89A2200 00004014
	ds_write_b64 v20, v[68:69] offset:13056                    // 00000000560C: D89A3300 00004414
	ds_write_b64 v20, v[72:73] offset:2176                     // 000000005614: D89A0880 00004814
	ds_write_b64 v20, v[76:77] offset:6528                     // 00000000561C: D89A1980 00004C14
	ds_write_b64 v20, v[80:81] offset:10880                    // 000000005624: D89A2A80 00005014
	ds_write_b64 v20, v[84:85] offset:15232                    // 00000000562C: D89A3B80 00005414
	v_lshrrev_b32_e32 v4, 5, v0                                // 000000005634: 20080085
	v_xor_b32_e32 v5, 1, v4                                    // 000000005638: 2A0A0881
	s_mul_i32 s60, s65, 1                                      // 00000000563C: 923C8141
	s_cmp_eq_u32 s88, 0                                        // 000000005640: BF068058
	s_cselect_b32 s61, 1, 8                                    // 000000005644: 853D8881
	s_mul_i32 s60, s61, s60                                    // 000000005648: 923C3C3D
	v_readlane_b32 s82, v3, 0                                  // 00000000564C: D2890052 00010103
	s_lshr_b32 s61, s82, 24                                    // 000000005654: 8F3D9852
	s_and_b32 s82, s82, 0xffffff                               // 000000005658: 8652FF52 00FFFFFF
	s_mul_i32 s82, s82, s71                                    // 000000005660: 92524752
	s_mul_i32 s61, s60, s61                                    // 000000005664: 923D3D3C
	s_add_u32 s82, s82, s61                                    // 000000005668: 80523D52
	v_mul_lo_u32 v6, v5, s82                                   // 00000000566C: D2850006 0000A505
	v_readlane_b32 s82, v3, 1                                  // 000000005674: D2890052 00010303
	s_lshr_b32 s61, s82, 24                                    // 00000000567C: 8F3D9852
	s_and_b32 s82, s82, 0xffffff                               // 000000005680: 8652FF52 00FFFFFF
	s_mul_i32 s82, s82, s71                                    // 000000005688: 92524752
	s_mul_i32 s61, s60, s61                                    // 00000000568C: 923D3D3C
	s_add_u32 s82, s82, s61                                    // 000000005690: 80523D52
	v_mul_lo_u32 v7, v4, s82                                   // 000000005694: D2850007 0000A504
	v_add_u32_e32 v44, v6, v7                                  // 00000000569C: 68580F06
	v_readlane_b32 s82, v3, 2                                  // 0000000056A0: D2890052 00010503
	s_lshr_b32 s61, s82, 24                                    // 0000000056A8: 8F3D9852
	s_and_b32 s82, s82, 0xffffff                               // 0000000056AC: 8652FF52 00FFFFFF
	s_mul_i32 s82, s82, s71                                    // 0000000056B4: 92524752
	s_mul_i32 s61, s60, s61                                    // 0000000056B8: 923D3D3C
	s_add_u32 s82, s82, s61                                    // 0000000056BC: 80523D52
	v_mul_lo_u32 v6, v5, s82                                   // 0000000056C0: D2850006 0000A505
	v_readlane_b32 s82, v3, 3                                  // 0000000056C8: D2890052 00010703
	s_lshr_b32 s61, s82, 24                                    // 0000000056D0: 8F3D9852
	s_and_b32 s82, s82, 0xffffff                               // 0000000056D4: 8652FF52 00FFFFFF
	s_mul_i32 s82, s82, s71                                    // 0000000056DC: 92524752
	s_mul_i32 s61, s60, s61                                    // 0000000056E0: 923D3D3C
	s_add_u32 s82, s82, s61                                    // 0000000056E4: 80523D52
	v_mul_lo_u32 v7, v4, s82                                   // 0000000056E8: D2850007 0000A504
	v_add_u32_e32 v45, v6, v7                                  // 0000000056F0: 685A0F06
	v_readlane_b32 s82, v3, 4                                  // 0000000056F4: D2890052 00010903
	s_lshr_b32 s61, s82, 24                                    // 0000000056FC: 8F3D9852
	s_and_b32 s82, s82, 0xffffff                               // 000000005700: 8652FF52 00FFFFFF
	s_mul_i32 s82, s82, s71                                    // 000000005708: 92524752
	s_mul_i32 s61, s60, s61                                    // 00000000570C: 923D3D3C
	s_add_u32 s82, s82, s61                                    // 000000005710: 80523D52
	v_mul_lo_u32 v6, v5, s82                                   // 000000005714: D2850006 0000A505
	v_readlane_b32 s82, v3, 5                                  // 00000000571C: D2890052 00010B03
	s_lshr_b32 s61, s82, 24                                    // 000000005724: 8F3D9852
	s_and_b32 s82, s82, 0xffffff                               // 000000005728: 8652FF52 00FFFFFF
	s_mul_i32 s82, s82, s71                                    // 000000005730: 92524752
	s_mul_i32 s61, s60, s61                                    // 000000005734: 923D3D3C
	s_add_u32 s82, s82, s61                                    // 000000005738: 80523D52
	v_mul_lo_u32 v7, v4, s82                                   // 00000000573C: D2850007 0000A504
	v_add_u32_e32 v46, v6, v7                                  // 000000005744: 685C0F06
	v_readlane_b32 s82, v3, 6                                  // 000000005748: D2890052 00010D03
	s_lshr_b32 s61, s82, 24                                    // 000000005750: 8F3D9852
	s_and_b32 s82, s82, 0xffffff                               // 000000005754: 8652FF52 00FFFFFF
	s_mul_i32 s82, s82, s71                                    // 00000000575C: 92524752
	s_mul_i32 s61, s60, s61                                    // 000000005760: 923D3D3C
	s_add_u32 s82, s82, s61                                    // 000000005764: 80523D52
	v_mul_lo_u32 v6, v5, s82                                   // 000000005768: D2850006 0000A505
	v_readlane_b32 s82, v3, 7                                  // 000000005770: D2890052 00010F03
	s_lshr_b32 s61, s82, 24                                    // 000000005778: 8F3D9852
	s_and_b32 s82, s82, 0xffffff                               // 00000000577C: 8652FF52 00FFFFFF
	s_mul_i32 s82, s82, s71                                    // 000000005784: 92524752
	s_mul_i32 s61, s60, s61                                    // 000000005788: 923D3D3C
	s_add_u32 s82, s82, s61                                    // 00000000578C: 80523D52
	v_mul_lo_u32 v7, v4, s82                                   // 000000005790: D2850007 0000A504
	v_add_u32_e32 v47, v6, v7                                  // 000000005798: 685E0F06
	v_readlane_b32 s82, v3, 8                                  // 00000000579C: D2890052 00011103
	s_lshr_b32 s61, s82, 24                                    // 0000000057A4: 8F3D9852
	s_and_b32 s82, s82, 0xffffff                               // 0000000057A8: 8652FF52 00FFFFFF
	s_mul_i32 s82, s82, s71                                    // 0000000057B0: 92524752
	s_mul_i32 s61, s60, s61                                    // 0000000057B4: 923D3D3C
	s_add_u32 s82, s82, s61                                    // 0000000057B8: 80523D52
	v_mul_lo_u32 v6, v5, s82                                   // 0000000057BC: D2850006 0000A505
	v_readlane_b32 s82, v3, 9                                  // 0000000057C4: D2890052 00011303
	s_lshr_b32 s61, s82, 24                                    // 0000000057CC: 8F3D9852
	s_and_b32 s82, s82, 0xffffff                               // 0000000057D0: 8652FF52 00FFFFFF
	s_mul_i32 s82, s82, s71                                    // 0000000057D8: 92524752
	s_mul_i32 s61, s60, s61                                    // 0000000057DC: 923D3D3C
	s_add_u32 s82, s82, s61                                    // 0000000057E0: 80523D52
	v_mul_lo_u32 v7, v4, s82                                   // 0000000057E4: D2850007 0000A504
	v_add_u32_e32 v48, v6, v7                                  // 0000000057EC: 68600F06
	v_readlane_b32 s82, v3, 10                                 // 0000000057F0: D2890052 00011503
	s_lshr_b32 s61, s82, 24                                    // 0000000057F8: 8F3D9852
	s_and_b32 s82, s82, 0xffffff                               // 0000000057FC: 8652FF52 00FFFFFF
	s_mul_i32 s82, s82, s71                                    // 000000005804: 92524752
	s_mul_i32 s61, s60, s61                                    // 000000005808: 923D3D3C
	s_add_u32 s82, s82, s61                                    // 00000000580C: 80523D52
	v_mul_lo_u32 v6, v5, s82                                   // 000000005810: D2850006 0000A505
	v_readlane_b32 s82, v3, 11                                 // 000000005818: D2890052 00011703
	s_lshr_b32 s61, s82, 24                                    // 000000005820: 8F3D9852
	s_and_b32 s82, s82, 0xffffff                               // 000000005824: 8652FF52 00FFFFFF
	s_mul_i32 s82, s82, s71                                    // 00000000582C: 92524752
	s_mul_i32 s61, s60, s61                                    // 000000005830: 923D3D3C
	s_add_u32 s82, s82, s61                                    // 000000005834: 80523D52
	v_mul_lo_u32 v7, v4, s82                                   // 000000005838: D2850007 0000A504
	v_add_u32_e32 v49, v6, v7                                  // 000000005840: 68620F06
	v_readlane_b32 s82, v3, 12                                 // 000000005844: D2890052 00011903
	s_lshr_b32 s61, s82, 24                                    // 00000000584C: 8F3D9852
	s_and_b32 s82, s82, 0xffffff                               // 000000005850: 8652FF52 00FFFFFF
	s_mul_i32 s82, s82, s71                                    // 000000005858: 92524752
	s_mul_i32 s61, s60, s61                                    // 00000000585C: 923D3D3C
	s_add_u32 s82, s82, s61                                    // 000000005860: 80523D52
	v_mul_lo_u32 v6, v5, s82                                   // 000000005864: D2850006 0000A505
	v_readlane_b32 s82, v3, 13                                 // 00000000586C: D2890052 00011B03
	s_lshr_b32 s61, s82, 24                                    // 000000005874: 8F3D9852
	s_and_b32 s82, s82, 0xffffff                               // 000000005878: 8652FF52 00FFFFFF
	s_mul_i32 s82, s82, s71                                    // 000000005880: 92524752
	s_mul_i32 s61, s60, s61                                    // 000000005884: 923D3D3C
	s_add_u32 s82, s82, s61                                    // 000000005888: 80523D52
	v_mul_lo_u32 v7, v4, s82                                   // 00000000588C: D2850007 0000A504
	v_add_u32_e32 v50, v6, v7                                  // 000000005894: 68640F06
	v_readlane_b32 s82, v3, 14                                 // 000000005898: D2890052 00011D03
	s_lshr_b32 s61, s82, 24                                    // 0000000058A0: 8F3D9852
	s_and_b32 s82, s82, 0xffffff                               // 0000000058A4: 8652FF52 00FFFFFF
	s_mul_i32 s82, s82, s71                                    // 0000000058AC: 92524752
	s_mul_i32 s61, s60, s61                                    // 0000000058B0: 923D3D3C
	s_add_u32 s82, s82, s61                                    // 0000000058B4: 80523D52
	v_mul_lo_u32 v6, v5, s82                                   // 0000000058B8: D2850006 0000A505
	v_readlane_b32 s82, v3, 15                                 // 0000000058C0: D2890052 00011F03
	s_lshr_b32 s61, s82, 24                                    // 0000000058C8: 8F3D9852
	s_and_b32 s82, s82, 0xffffff                               // 0000000058CC: 8652FF52 00FFFFFF
	s_mul_i32 s82, s82, s71                                    // 0000000058D4: 92524752
	s_mul_i32 s61, s60, s61                                    // 0000000058D8: 923D3D3C
	s_add_u32 s82, s82, s61                                    // 0000000058DC: 80523D52
	v_mul_lo_u32 v7, v4, s82                                   // 0000000058E0: D2850007 0000A504
	v_add_u32_e32 v51, v6, v7                                  // 0000000058E8: 68660F06
	v_and_b32_e32 v4, 31, v0                                   // 0000000058EC: 2608009F
	v_lshrrev_b32_e32 v4, 1, v4                                // 0000000058F0: 20080881
	s_cmp_eq_u32 s88, 0                                        // 0000000058F4: BF068058
	s_cselect_b32 s61, 2, 4                                    // 0000000058F8: 853D8482
	v_mul_lo_u32 v4, v4, s61                                   // 0000000058FC: D2850004 00007B04
	v_and_b32_e64 v5, v0, 1                                    // 000000005904: D1130005 00010300
	v_add_u32_e32 v4, v4, v5                                   // 00000000590C: 68080B04
	v_lshlrev_b32_e32 v4, 2, v4                                // 000000005910: 24080882
	v_add_u32_e32 v44, v44, v4                                 // 000000005914: 6858092C
	v_add_u32_e32 v45, v45, v4                                 // 000000005918: 685A092D
	v_add_u32_e32 v46, v46, v4                                 // 00000000591C: 685C092E
	v_add_u32_e32 v47, v47, v4                                 // 000000005920: 685E092F
	v_add_u32_e32 v48, v48, v4                                 // 000000005924: 68600930
	v_add_u32_e32 v49, v49, v4                                 // 000000005928: 68620931
	v_add_u32_e32 v50, v50, v4                                 // 00000000592C: 68640932
	v_add_u32_e32 v51, v51, v4                                 // 000000005930: 68660933
	s_waitcnt lgkmcnt(0)                                       // 000000005934: BF8CC07F
	s_barrier                                                  // 000000005938: BF8A0000
	ds_read_b32 v56, v21                                       // 00000000593C: D86C0000 38000015
	ds_read_b32 v57, v21 offset:64                             // 000000005944: D86C0040 39000015
	ds_read_b32 v60, v21 offset:2176                           // 00000000594C: D86C0880 3C000015
	ds_read_b32 v61, v21 offset:2240                           // 000000005954: D86C08C0 3D000015
	ds_read_b32 v64, v21 offset:4352                           // 00000000595C: D86C1100 40000015
	ds_read_b32 v65, v21 offset:4416                           // 000000005964: D86C1140 41000015
	ds_read_b32 v68, v21 offset:6528                           // 00000000596C: D86C1980 44000015
	ds_read_b32 v69, v21 offset:6592                           // 000000005974: D86C19C0 45000015
	ds_read_b32 v72, v21 offset:8704                           // 00000000597C: D86C2200 48000015
	ds_read_b32 v73, v21 offset:8768                           // 000000005984: D86C2240 49000015
	ds_read_b32 v76, v21 offset:10880                          // 00000000598C: D86C2A80 4C000015
	ds_read_b32 v77, v21 offset:10944                          // 000000005994: D86C2AC0 4D000015
	ds_read_b32 v80, v21 offset:13056                          // 00000000599C: D86C3300 50000015
	ds_read_b32 v81, v21 offset:13120                          // 0000000059A4: D86C3340 51000015
	ds_read_b32 v84, v21 offset:15232                          // 0000000059AC: D86C3B80 54000015
	ds_read_b32 v85, v21 offset:15296                          // 0000000059B4: D86C3BC0 55000015
	s_waitcnt lgkmcnt(0)                                       // 0000000059BC: BF8CC07F
	s_mov_b32 s36, -1                                          // 0000000059C0: BEA400C1
	s_mov_b32 s37, -1                                          // 0000000059C4: BEA500C1
	v_mov_b32_e32 v7, 0                                        // 0000000059C8: 7E0E0280
	s_mov_b64 exec, s[36:37]                                   // 0000000059CC: BEFE0124
	v_mov_b32_e32 v6, v44                                      // 0000000059D0: 7E0C032C
	s_mov_b64 s[60:61], 0                                      // 0000000059D4: BEBC0180
	v_readlane_b32 s82, v3, 0                                  // 0000000059D8: D2890052 00010103
	s_and_b32 s82, s82, 0xffffff                               // 0000000059E0: 8652FF52 00FFFFFF
	s_cmp_lt_u32 s82, s66                                      // 0000000059E8: BF0A4252
	s_cselect_b32 s20, s36, s60                                // 0000000059EC: 85143C24
	v_readlane_b32 s82, v3, 1                                  // 0000000059F0: D2890052 00010303
	s_and_b32 s82, s82, 0xffffff                               // 0000000059F8: 8652FF52 00FFFFFF
	s_cmp_lt_u32 s82, s66                                      // 000000005A00: BF0A4252
	s_cselect_b32 s21, s36, s60                                // 000000005A04: 85153C24
	s_mov_b64 exec, s[20:21]                                   // 000000005A08: BEFE0114
	global_atomic_add_f32 v6, v56, s[8:9]                      // 000000005A0C: DD348000 00083806
	global_atomic_add_f32 v6, v60, s[8:9] offset:256           // 000000005A14: DD348100 00083C06
	s_mov_b64 exec, s[36:37]                                   // 000000005A1C: BEFE0124
	v_mov_b32_e32 v6, v45                                      // 000000005A20: 7E0C032D
	s_mov_b64 s[60:61], 0                                      // 000000005A24: BEBC0180
	v_readlane_b32 s82, v3, 2                                  // 000000005A28: D2890052 00010503
	s_and_b32 s82, s82, 0xffffff                               // 000000005A30: 8652FF52 00FFFFFF
	s_cmp_lt_u32 s82, s66                                      // 000000005A38: BF0A4252
	s_cselect_b32 s20, s36, s60                                // 000000005A3C: 85143C24
	v_readlane_b32 s82, v3, 3                                  // 000000005A40: D2890052 00010703
	s_and_b32 s82, s82, 0xffffff                               // 000000005A48: 8652FF52 00FFFFFF
	s_cmp_lt_u32 s82, s66                                      // 000000005A50: BF0A4252
	s_cselect_b32 s21, s36, s60                                // 000000005A54: 85153C24
	s_mov_b64 exec, s[20:21]                                   // 000000005A58: BEFE0114
	global_atomic_add_f32 v6, v57, s[8:9]                      // 000000005A5C: DD348000 00083906
	global_atomic_add_f32 v6, v61, s[8:9] offset:256           // 000000005A64: DD348100 00083D06
	s_mov_b64 exec, s[36:37]                                   // 000000005A6C: BEFE0124
	v_mov_b32_e32 v6, v46                                      // 000000005A70: 7E0C032E
	s_mov_b64 s[60:61], 0                                      // 000000005A74: BEBC0180
	v_readlane_b32 s82, v3, 4                                  // 000000005A78: D2890052 00010903
	s_and_b32 s82, s82, 0xffffff                               // 000000005A80: 8652FF52 00FFFFFF
	s_cmp_lt_u32 s82, s66                                      // 000000005A88: BF0A4252
	s_cselect_b32 s20, s36, s60                                // 000000005A8C: 85143C24
	v_readlane_b32 s82, v3, 5                                  // 000000005A90: D2890052 00010B03
	s_and_b32 s82, s82, 0xffffff                               // 000000005A98: 8652FF52 00FFFFFF
	s_cmp_lt_u32 s82, s66                                      // 000000005AA0: BF0A4252
	s_cselect_b32 s21, s36, s60                                // 000000005AA4: 85153C24
	s_mov_b64 exec, s[20:21]                                   // 000000005AA8: BEFE0114
	global_atomic_add_f32 v6, v64, s[8:9]                      // 000000005AAC: DD348000 00084006
	global_atomic_add_f32 v6, v68, s[8:9] offset:256           // 000000005AB4: DD348100 00084406
	s_mov_b64 exec, s[36:37]                                   // 000000005ABC: BEFE0124
	v_mov_b32_e32 v6, v47                                      // 000000005AC0: 7E0C032F
	s_mov_b64 s[60:61], 0                                      // 000000005AC4: BEBC0180
	v_readlane_b32 s82, v3, 6                                  // 000000005AC8: D2890052 00010D03
	s_and_b32 s82, s82, 0xffffff                               // 000000005AD0: 8652FF52 00FFFFFF
	s_cmp_lt_u32 s82, s66                                      // 000000005AD8: BF0A4252
	s_cselect_b32 s20, s36, s60                                // 000000005ADC: 85143C24
	v_readlane_b32 s82, v3, 7                                  // 000000005AE0: D2890052 00010F03
	s_and_b32 s82, s82, 0xffffff                               // 000000005AE8: 8652FF52 00FFFFFF
	s_cmp_lt_u32 s82, s66                                      // 000000005AF0: BF0A4252
	s_cselect_b32 s21, s36, s60                                // 000000005AF4: 85153C24
	s_mov_b64 exec, s[20:21]                                   // 000000005AF8: BEFE0114
	global_atomic_add_f32 v6, v65, s[8:9]                      // 000000005AFC: DD348000 00084106
	global_atomic_add_f32 v6, v69, s[8:9] offset:256           // 000000005B04: DD348100 00084506
	s_mov_b64 exec, s[36:37]                                   // 000000005B0C: BEFE0124
	v_mov_b32_e32 v6, v48                                      // 000000005B10: 7E0C0330
	s_mov_b64 s[60:61], 0                                      // 000000005B14: BEBC0180
	v_readlane_b32 s82, v3, 8                                  // 000000005B18: D2890052 00011103
	s_and_b32 s82, s82, 0xffffff                               // 000000005B20: 8652FF52 00FFFFFF
	s_cmp_lt_u32 s82, s66                                      // 000000005B28: BF0A4252
	s_cselect_b32 s20, s36, s60                                // 000000005B2C: 85143C24
	v_readlane_b32 s82, v3, 9                                  // 000000005B30: D2890052 00011303
	s_and_b32 s82, s82, 0xffffff                               // 000000005B38: 8652FF52 00FFFFFF
	s_cmp_lt_u32 s82, s66                                      // 000000005B40: BF0A4252
	s_cselect_b32 s21, s36, s60                                // 000000005B44: 85153C24
	s_mov_b64 exec, s[20:21]                                   // 000000005B48: BEFE0114
	global_atomic_add_f32 v6, v72, s[8:9]                      // 000000005B4C: DD348000 00084806
	global_atomic_add_f32 v6, v76, s[8:9] offset:256           // 000000005B54: DD348100 00084C06
	s_mov_b64 exec, s[36:37]                                   // 000000005B5C: BEFE0124
	v_mov_b32_e32 v6, v49                                      // 000000005B60: 7E0C0331
	s_mov_b64 s[60:61], 0                                      // 000000005B64: BEBC0180
	v_readlane_b32 s82, v3, 10                                 // 000000005B68: D2890052 00011503
	s_and_b32 s82, s82, 0xffffff                               // 000000005B70: 8652FF52 00FFFFFF
	s_cmp_lt_u32 s82, s66                                      // 000000005B78: BF0A4252
	s_cselect_b32 s20, s36, s60                                // 000000005B7C: 85143C24
	v_readlane_b32 s82, v3, 11                                 // 000000005B80: D2890052 00011703
	s_and_b32 s82, s82, 0xffffff                               // 000000005B88: 8652FF52 00FFFFFF
	s_cmp_lt_u32 s82, s66                                      // 000000005B90: BF0A4252
	s_cselect_b32 s21, s36, s60                                // 000000005B94: 85153C24
	s_mov_b64 exec, s[20:21]                                   // 000000005B98: BEFE0114
	global_atomic_add_f32 v6, v73, s[8:9]                      // 000000005B9C: DD348000 00084906
	global_atomic_add_f32 v6, v77, s[8:9] offset:256           // 000000005BA4: DD348100 00084D06
	s_mov_b64 exec, s[36:37]                                   // 000000005BAC: BEFE0124
	v_mov_b32_e32 v6, v50                                      // 000000005BB0: 7E0C0332
	s_mov_b64 s[60:61], 0                                      // 000000005BB4: BEBC0180
	v_readlane_b32 s82, v3, 12                                 // 000000005BB8: D2890052 00011903
	s_and_b32 s82, s82, 0xffffff                               // 000000005BC0: 8652FF52 00FFFFFF
	s_cmp_lt_u32 s82, s66                                      // 000000005BC8: BF0A4252
	s_cselect_b32 s20, s36, s60                                // 000000005BCC: 85143C24
	v_readlane_b32 s82, v3, 13                                 // 000000005BD0: D2890052 00011B03
	s_and_b32 s82, s82, 0xffffff                               // 000000005BD8: 8652FF52 00FFFFFF
	s_cmp_lt_u32 s82, s66                                      // 000000005BE0: BF0A4252
	s_cselect_b32 s21, s36, s60                                // 000000005BE4: 85153C24
	s_mov_b64 exec, s[20:21]                                   // 000000005BE8: BEFE0114
	global_atomic_add_f32 v6, v80, s[8:9]                      // 000000005BEC: DD348000 00085006
	global_atomic_add_f32 v6, v84, s[8:9] offset:256           // 000000005BF4: DD348100 00085406
	s_mov_b64 exec, s[36:37]                                   // 000000005BFC: BEFE0124
	v_mov_b32_e32 v6, v51                                      // 000000005C00: 7E0C0333
	s_mov_b64 s[60:61], 0                                      // 000000005C04: BEBC0180
	v_readlane_b32 s82, v3, 14                                 // 000000005C08: D2890052 00011D03
	s_and_b32 s82, s82, 0xffffff                               // 000000005C10: 8652FF52 00FFFFFF
	s_cmp_lt_u32 s82, s66                                      // 000000005C18: BF0A4252
	s_cselect_b32 s20, s36, s60                                // 000000005C1C: 85143C24
	v_readlane_b32 s82, v3, 15                                 // 000000005C20: D2890052 00011F03
	s_and_b32 s82, s82, 0xffffff                               // 000000005C28: 8652FF52 00FFFFFF
	s_cmp_lt_u32 s82, s66                                      // 000000005C30: BF0A4252
	s_cselect_b32 s21, s36, s60                                // 000000005C34: 85153C24
	s_mov_b64 exec, s[20:21]                                   // 000000005C38: BEFE0114
	global_atomic_add_f32 v6, v81, s[8:9]                      // 000000005C3C: DD348000 00085106
	global_atomic_add_f32 v6, v85, s[8:9] offset:256           // 000000005C44: DD348100 00085506
	s_mov_b64 exec, s[36:37]                                   // 000000005C4C: BEFE0124
	ds_write_b64 v20, v[58:59]                                 // 000000005C50: D89A0000 00003A14
	ds_write_b64 v20, v[62:63] offset:4352                     // 000000005C58: D89A1100 00003E14
	ds_write_b64 v20, v[66:67] offset:8704                     // 000000005C60: D89A2200 00004214
	ds_write_b64 v20, v[70:71] offset:13056                    // 000000005C68: D89A3300 00004614
	ds_write_b64 v20, v[74:75] offset:2176                     // 000000005C70: D89A0880 00004A14
	ds_write_b64 v20, v[78:79] offset:6528                     // 000000005C78: D89A1980 00004E14
	ds_write_b64 v20, v[82:83] offset:10880                    // 000000005C80: D89A2A80 00005214
	ds_write_b64 v20, v[86:87] offset:15232                    // 000000005C88: D89A3B80 00005614
	s_waitcnt lgkmcnt(0)                                       // 000000005C90: BF8CC07F
	s_barrier                                                  // 000000005C94: BF8A0000
	ds_read_b32 v58, v21                                       // 000000005C98: D86C0000 3A000015
	ds_read_b32 v59, v21 offset:64                             // 000000005CA0: D86C0040 3B000015
	ds_read_b32 v62, v21 offset:2176                           // 000000005CA8: D86C0880 3E000015
	ds_read_b32 v63, v21 offset:2240                           // 000000005CB0: D86C08C0 3F000015
	ds_read_b32 v66, v21 offset:4352                           // 000000005CB8: D86C1100 42000015
	ds_read_b32 v67, v21 offset:4416                           // 000000005CC0: D86C1140 43000015
	ds_read_b32 v70, v21 offset:6528                           // 000000005CC8: D86C1980 46000015
	ds_read_b32 v71, v21 offset:6592                           // 000000005CD0: D86C19C0 47000015
	ds_read_b32 v74, v21 offset:8704                           // 000000005CD8: D86C2200 4A000015
	ds_read_b32 v75, v21 offset:8768                           // 000000005CE0: D86C2240 4B000015
	ds_read_b32 v78, v21 offset:10880                          // 000000005CE8: D86C2A80 4E000015
	ds_read_b32 v79, v21 offset:10944                          // 000000005CF0: D86C2AC0 4F000015
	ds_read_b32 v82, v21 offset:13056                          // 000000005CF8: D86C3300 52000015
	ds_read_b32 v83, v21 offset:13120                          // 000000005D00: D86C3340 53000015
	ds_read_b32 v86, v21 offset:15232                          // 000000005D08: D86C3B80 56000015
	ds_read_b32 v87, v21 offset:15296                          // 000000005D10: D86C3BC0 57000015
	s_waitcnt lgkmcnt(0)                                       // 000000005D18: BF8CC07F
	v_mov_b32_e32 v7, 0                                        // 000000005D1C: 7E0E0280
	s_mov_b64 exec, s[36:37]                                   // 000000005D20: BEFE0124
	v_mov_b32_e32 v6, v44                                      // 000000005D24: 7E0C032C
	s_mov_b64 s[60:61], 0                                      // 000000005D28: BEBC0180
	v_readlane_b32 s82, v3, 0                                  // 000000005D2C: D2890052 00010103
	s_and_b32 s82, s82, 0xffffff                               // 000000005D34: 8652FF52 00FFFFFF
	s_cmp_lt_u32 s82, s66                                      // 000000005D3C: BF0A4252
	s_cselect_b32 s20, s36, s60                                // 000000005D40: 85143C24
	v_readlane_b32 s82, v3, 1                                  // 000000005D44: D2890052 00010303
	s_and_b32 s82, s82, 0xffffff                               // 000000005D4C: 8652FF52 00FFFFFF
	s_cmp_lt_u32 s82, s66                                      // 000000005D54: BF0A4252
	s_cselect_b32 s21, s36, s60                                // 000000005D58: 85153C24
	s_mov_b64 exec, s[20:21]                                   // 000000005D5C: BEFE0114
	global_atomic_add_f32 v6, v58, s[8:9] offset:8             // 000000005D60: DD348008 00083A06
	global_atomic_add_f32 v6, v62, s[8:9] offset:264           // 000000005D68: DD348108 00083E06
	s_mov_b64 exec, s[36:37]                                   // 000000005D70: BEFE0124
	v_mov_b32_e32 v6, v45                                      // 000000005D74: 7E0C032D
	s_mov_b64 s[60:61], 0                                      // 000000005D78: BEBC0180
	v_readlane_b32 s82, v3, 2                                  // 000000005D7C: D2890052 00010503
	s_and_b32 s82, s82, 0xffffff                               // 000000005D84: 8652FF52 00FFFFFF
	s_cmp_lt_u32 s82, s66                                      // 000000005D8C: BF0A4252
	s_cselect_b32 s20, s36, s60                                // 000000005D90: 85143C24
	v_readlane_b32 s82, v3, 3                                  // 000000005D94: D2890052 00010703
	s_and_b32 s82, s82, 0xffffff                               // 000000005D9C: 8652FF52 00FFFFFF
	s_cmp_lt_u32 s82, s66                                      // 000000005DA4: BF0A4252
	s_cselect_b32 s21, s36, s60                                // 000000005DA8: 85153C24
	s_mov_b64 exec, s[20:21]                                   // 000000005DAC: BEFE0114
	global_atomic_add_f32 v6, v59, s[8:9] offset:8             // 000000005DB0: DD348008 00083B06
	global_atomic_add_f32 v6, v63, s[8:9] offset:264           // 000000005DB8: DD348108 00083F06
	s_mov_b64 exec, s[36:37]                                   // 000000005DC0: BEFE0124
	v_mov_b32_e32 v6, v46                                      // 000000005DC4: 7E0C032E
	s_mov_b64 s[60:61], 0                                      // 000000005DC8: BEBC0180
	v_readlane_b32 s82, v3, 4                                  // 000000005DCC: D2890052 00010903
	s_and_b32 s82, s82, 0xffffff                               // 000000005DD4: 8652FF52 00FFFFFF
	s_cmp_lt_u32 s82, s66                                      // 000000005DDC: BF0A4252
	s_cselect_b32 s20, s36, s60                                // 000000005DE0: 85143C24
	v_readlane_b32 s82, v3, 5                                  // 000000005DE4: D2890052 00010B03
	s_and_b32 s82, s82, 0xffffff                               // 000000005DEC: 8652FF52 00FFFFFF
	s_cmp_lt_u32 s82, s66                                      // 000000005DF4: BF0A4252
	s_cselect_b32 s21, s36, s60                                // 000000005DF8: 85153C24
	s_mov_b64 exec, s[20:21]                                   // 000000005DFC: BEFE0114
	global_atomic_add_f32 v6, v66, s[8:9] offset:8             // 000000005E00: DD348008 00084206
	global_atomic_add_f32 v6, v70, s[8:9] offset:264           // 000000005E08: DD348108 00084606
	s_mov_b64 exec, s[36:37]                                   // 000000005E10: BEFE0124
	v_mov_b32_e32 v6, v47                                      // 000000005E14: 7E0C032F
	s_mov_b64 s[60:61], 0                                      // 000000005E18: BEBC0180
	v_readlane_b32 s82, v3, 6                                  // 000000005E1C: D2890052 00010D03
	s_and_b32 s82, s82, 0xffffff                               // 000000005E24: 8652FF52 00FFFFFF
	s_cmp_lt_u32 s82, s66                                      // 000000005E2C: BF0A4252
	s_cselect_b32 s20, s36, s60                                // 000000005E30: 85143C24
	v_readlane_b32 s82, v3, 7                                  // 000000005E34: D2890052 00010F03
	s_and_b32 s82, s82, 0xffffff                               // 000000005E3C: 8652FF52 00FFFFFF
	s_cmp_lt_u32 s82, s66                                      // 000000005E44: BF0A4252
	s_cselect_b32 s21, s36, s60                                // 000000005E48: 85153C24
	s_mov_b64 exec, s[20:21]                                   // 000000005E4C: BEFE0114
	global_atomic_add_f32 v6, v67, s[8:9] offset:8             // 000000005E50: DD348008 00084306
	global_atomic_add_f32 v6, v71, s[8:9] offset:264           // 000000005E58: DD348108 00084706
	s_mov_b64 exec, s[36:37]                                   // 000000005E60: BEFE0124
	v_mov_b32_e32 v6, v48                                      // 000000005E64: 7E0C0330
	s_mov_b64 s[60:61], 0                                      // 000000005E68: BEBC0180
	v_readlane_b32 s82, v3, 8                                  // 000000005E6C: D2890052 00011103
	s_and_b32 s82, s82, 0xffffff                               // 000000005E74: 8652FF52 00FFFFFF
	s_cmp_lt_u32 s82, s66                                      // 000000005E7C: BF0A4252
	s_cselect_b32 s20, s36, s60                                // 000000005E80: 85143C24
	v_readlane_b32 s82, v3, 9                                  // 000000005E84: D2890052 00011303
	s_and_b32 s82, s82, 0xffffff                               // 000000005E8C: 8652FF52 00FFFFFF
	s_cmp_lt_u32 s82, s66                                      // 000000005E94: BF0A4252
	s_cselect_b32 s21, s36, s60                                // 000000005E98: 85153C24
	s_mov_b64 exec, s[20:21]                                   // 000000005E9C: BEFE0114
	global_atomic_add_f32 v6, v74, s[8:9] offset:8             // 000000005EA0: DD348008 00084A06
	global_atomic_add_f32 v6, v78, s[8:9] offset:264           // 000000005EA8: DD348108 00084E06
	s_mov_b64 exec, s[36:37]                                   // 000000005EB0: BEFE0124
	v_mov_b32_e32 v6, v49                                      // 000000005EB4: 7E0C0331
	s_mov_b64 s[60:61], 0                                      // 000000005EB8: BEBC0180
	v_readlane_b32 s82, v3, 10                                 // 000000005EBC: D2890052 00011503
	s_and_b32 s82, s82, 0xffffff                               // 000000005EC4: 8652FF52 00FFFFFF
	s_cmp_lt_u32 s82, s66                                      // 000000005ECC: BF0A4252
	s_cselect_b32 s20, s36, s60                                // 000000005ED0: 85143C24
	v_readlane_b32 s82, v3, 11                                 // 000000005ED4: D2890052 00011703
	s_and_b32 s82, s82, 0xffffff                               // 000000005EDC: 8652FF52 00FFFFFF
	s_cmp_lt_u32 s82, s66                                      // 000000005EE4: BF0A4252
	s_cselect_b32 s21, s36, s60                                // 000000005EE8: 85153C24
	s_mov_b64 exec, s[20:21]                                   // 000000005EEC: BEFE0114
	global_atomic_add_f32 v6, v75, s[8:9] offset:8             // 000000005EF0: DD348008 00084B06
	global_atomic_add_f32 v6, v79, s[8:9] offset:264           // 000000005EF8: DD348108 00084F06
	s_mov_b64 exec, s[36:37]                                   // 000000005F00: BEFE0124
	v_mov_b32_e32 v6, v50                                      // 000000005F04: 7E0C0332
	s_mov_b64 s[60:61], 0                                      // 000000005F08: BEBC0180
	v_readlane_b32 s82, v3, 12                                 // 000000005F0C: D2890052 00011903
	s_and_b32 s82, s82, 0xffffff                               // 000000005F14: 8652FF52 00FFFFFF
	s_cmp_lt_u32 s82, s66                                      // 000000005F1C: BF0A4252
	s_cselect_b32 s20, s36, s60                                // 000000005F20: 85143C24
	v_readlane_b32 s82, v3, 13                                 // 000000005F24: D2890052 00011B03
	s_and_b32 s82, s82, 0xffffff                               // 000000005F2C: 8652FF52 00FFFFFF
	s_cmp_lt_u32 s82, s66                                      // 000000005F34: BF0A4252
	s_cselect_b32 s21, s36, s60                                // 000000005F38: 85153C24
	s_mov_b64 exec, s[20:21]                                   // 000000005F3C: BEFE0114
	global_atomic_add_f32 v6, v82, s[8:9] offset:8             // 000000005F40: DD348008 00085206
	global_atomic_add_f32 v6, v86, s[8:9] offset:264           // 000000005F48: DD348108 00085606
	s_mov_b64 exec, s[36:37]                                   // 000000005F50: BEFE0124
	v_mov_b32_e32 v6, v51                                      // 000000005F54: 7E0C0333
	s_mov_b64 s[60:61], 0                                      // 000000005F58: BEBC0180
	v_readlane_b32 s82, v3, 14                                 // 000000005F5C: D2890052 00011D03
	s_and_b32 s82, s82, 0xffffff                               // 000000005F64: 8652FF52 00FFFFFF
	s_cmp_lt_u32 s82, s66                                      // 000000005F6C: BF0A4252
	s_cselect_b32 s20, s36, s60                                // 000000005F70: 85143C24
	v_readlane_b32 s82, v3, 15                                 // 000000005F74: D2890052 00011F03
	s_and_b32 s82, s82, 0xffffff                               // 000000005F7C: 8652FF52 00FFFFFF
	s_cmp_lt_u32 s82, s66                                      // 000000005F84: BF0A4252
	s_cselect_b32 s21, s36, s60                                // 000000005F88: 85153C24
	s_mov_b64 exec, s[20:21]                                   // 000000005F8C: BEFE0114
	global_atomic_add_f32 v6, v83, s[8:9] offset:8             // 000000005F90: DD348008 00085306
	global_atomic_add_f32 v6, v87, s[8:9] offset:264           // 000000005F98: DD348108 00085706
	s_mov_b64 exec, s[36:37]                                   // 000000005FA0: BEFE0124
	ds_write_b64 v20, v[88:89]                                 // 000000005FA4: D89A0000 00005814
	ds_write_b64 v20, v[92:93] offset:4352                     // 000000005FAC: D89A1100 00005C14
	ds_write_b64 v20, v[96:97] offset:8704                     // 000000005FB4: D89A2200 00006014
	ds_write_b64 v20, v[100:101] offset:13056                  // 000000005FBC: D89A3300 00006414
	ds_write_b64 v20, v[104:105] offset:2176                   // 000000005FC4: D89A0880 00006814
	ds_write_b64 v20, v[108:109] offset:6528                   // 000000005FCC: D89A1980 00006C14
	ds_write_b64 v20, v[112:113] offset:10880                  // 000000005FD4: D89A2A80 00007014
	ds_write_b64 v20, v[116:117] offset:15232                  // 000000005FDC: D89A3B80 00007414
	s_waitcnt lgkmcnt(0)                                       // 000000005FE4: BF8CC07F
	s_barrier                                                  // 000000005FE8: BF8A0000
	ds_read_b32 v88, v21                                       // 000000005FEC: D86C0000 58000015
	ds_read_b32 v89, v21 offset:64                             // 000000005FF4: D86C0040 59000015
	ds_read_b32 v92, v21 offset:2176                           // 000000005FFC: D86C0880 5C000015
	ds_read_b32 v93, v21 offset:2240                           // 000000006004: D86C08C0 5D000015
	ds_read_b32 v96, v21 offset:4352                           // 00000000600C: D86C1100 60000015
	ds_read_b32 v97, v21 offset:4416                           // 000000006014: D86C1140 61000015
	ds_read_b32 v100, v21 offset:6528                          // 00000000601C: D86C1980 64000015
	ds_read_b32 v101, v21 offset:6592                          // 000000006024: D86C19C0 65000015
	ds_read_b32 v104, v21 offset:8704                          // 00000000602C: D86C2200 68000015
	ds_read_b32 v105, v21 offset:8768                          // 000000006034: D86C2240 69000015
	ds_read_b32 v108, v21 offset:10880                         // 00000000603C: D86C2A80 6C000015
	ds_read_b32 v109, v21 offset:10944                         // 000000006044: D86C2AC0 6D000015
	ds_read_b32 v112, v21 offset:13056                         // 00000000604C: D86C3300 70000015
	ds_read_b32 v113, v21 offset:13120                         // 000000006054: D86C3340 71000015
	ds_read_b32 v116, v21 offset:15232                         // 00000000605C: D86C3B80 74000015
	ds_read_b32 v117, v21 offset:15296                         // 000000006064: D86C3BC0 75000015
	s_mul_i32 s60, s65, 4                                      // 00000000606C: 923C8441
	s_add_u32 s8, s60, s8                                      // 000000006070: 8008083C
	s_addc_u32 s9, 0, s9                                       // 000000006074: 82090980
	s_waitcnt lgkmcnt(0)                                       // 000000006078: BF8CC07F
	v_mov_b32_e32 v7, 0                                        // 00000000607C: 7E0E0280
	s_mov_b64 exec, s[36:37]                                   // 000000006080: BEFE0124
	v_mov_b32_e32 v6, v44                                      // 000000006084: 7E0C032C
	s_mov_b64 s[60:61], 0                                      // 000000006088: BEBC0180
	v_readlane_b32 s82, v3, 0                                  // 00000000608C: D2890052 00010103
	s_and_b32 s82, s82, 0xffffff                               // 000000006094: 8652FF52 00FFFFFF
	s_cmp_lt_u32 s82, s66                                      // 00000000609C: BF0A4252
	s_cselect_b32 s20, s36, s60                                // 0000000060A0: 85143C24
	v_readlane_b32 s82, v3, 1                                  // 0000000060A4: D2890052 00010303
	s_and_b32 s82, s82, 0xffffff                               // 0000000060AC: 8652FF52 00FFFFFF
	s_cmp_lt_u32 s82, s66                                      // 0000000060B4: BF0A4252
	s_cselect_b32 s21, s36, s60                                // 0000000060B8: 85153C24
	s_mov_b64 exec, s[20:21]                                   // 0000000060BC: BEFE0114
	global_atomic_add_f32 v6, v88, s[8:9]                      // 0000000060C0: DD348000 00085806
	global_atomic_add_f32 v6, v92, s[8:9] offset:256           // 0000000060C8: DD348100 00085C06
	s_mov_b64 exec, s[36:37]                                   // 0000000060D0: BEFE0124
	v_mov_b32_e32 v6, v45                                      // 0000000060D4: 7E0C032D
	s_mov_b64 s[60:61], 0                                      // 0000000060D8: BEBC0180
	v_readlane_b32 s82, v3, 2                                  // 0000000060DC: D2890052 00010503
	s_and_b32 s82, s82, 0xffffff                               // 0000000060E4: 8652FF52 00FFFFFF
	s_cmp_lt_u32 s82, s66                                      // 0000000060EC: BF0A4252
	s_cselect_b32 s20, s36, s60                                // 0000000060F0: 85143C24
	v_readlane_b32 s82, v3, 3                                  // 0000000060F4: D2890052 00010703
	s_and_b32 s82, s82, 0xffffff                               // 0000000060FC: 8652FF52 00FFFFFF
	s_cmp_lt_u32 s82, s66                                      // 000000006104: BF0A4252
	s_cselect_b32 s21, s36, s60                                // 000000006108: 85153C24
	s_mov_b64 exec, s[20:21]                                   // 00000000610C: BEFE0114
	global_atomic_add_f32 v6, v89, s[8:9]                      // 000000006110: DD348000 00085906
	global_atomic_add_f32 v6, v93, s[8:9] offset:256           // 000000006118: DD348100 00085D06
	s_mov_b64 exec, s[36:37]                                   // 000000006120: BEFE0124
	v_mov_b32_e32 v6, v46                                      // 000000006124: 7E0C032E
	s_mov_b64 s[60:61], 0                                      // 000000006128: BEBC0180
	v_readlane_b32 s82, v3, 4                                  // 00000000612C: D2890052 00010903
	s_and_b32 s82, s82, 0xffffff                               // 000000006134: 8652FF52 00FFFFFF
	s_cmp_lt_u32 s82, s66                                      // 00000000613C: BF0A4252
	s_cselect_b32 s20, s36, s60                                // 000000006140: 85143C24
	v_readlane_b32 s82, v3, 5                                  // 000000006144: D2890052 00010B03
	s_and_b32 s82, s82, 0xffffff                               // 00000000614C: 8652FF52 00FFFFFF
	s_cmp_lt_u32 s82, s66                                      // 000000006154: BF0A4252
	s_cselect_b32 s21, s36, s60                                // 000000006158: 85153C24
	s_mov_b64 exec, s[20:21]                                   // 00000000615C: BEFE0114
	global_atomic_add_f32 v6, v96, s[8:9]                      // 000000006160: DD348000 00086006
	global_atomic_add_f32 v6, v100, s[8:9] offset:256          // 000000006168: DD348100 00086406
	s_mov_b64 exec, s[36:37]                                   // 000000006170: BEFE0124
	v_mov_b32_e32 v6, v47                                      // 000000006174: 7E0C032F
	s_mov_b64 s[60:61], 0                                      // 000000006178: BEBC0180
	v_readlane_b32 s82, v3, 6                                  // 00000000617C: D2890052 00010D03
	s_and_b32 s82, s82, 0xffffff                               // 000000006184: 8652FF52 00FFFFFF
	s_cmp_lt_u32 s82, s66                                      // 00000000618C: BF0A4252
	s_cselect_b32 s20, s36, s60                                // 000000006190: 85143C24
	v_readlane_b32 s82, v3, 7                                  // 000000006194: D2890052 00010F03
	s_and_b32 s82, s82, 0xffffff                               // 00000000619C: 8652FF52 00FFFFFF
	s_cmp_lt_u32 s82, s66                                      // 0000000061A4: BF0A4252
	s_cselect_b32 s21, s36, s60                                // 0000000061A8: 85153C24
	s_mov_b64 exec, s[20:21]                                   // 0000000061AC: BEFE0114
	global_atomic_add_f32 v6, v97, s[8:9]                      // 0000000061B0: DD348000 00086106
	global_atomic_add_f32 v6, v101, s[8:9] offset:256          // 0000000061B8: DD348100 00086506
	s_mov_b64 exec, s[36:37]                                   // 0000000061C0: BEFE0124
	v_mov_b32_e32 v6, v48                                      // 0000000061C4: 7E0C0330
	s_mov_b64 s[60:61], 0                                      // 0000000061C8: BEBC0180
	v_readlane_b32 s82, v3, 8                                  // 0000000061CC: D2890052 00011103
	s_and_b32 s82, s82, 0xffffff                               // 0000000061D4: 8652FF52 00FFFFFF
	s_cmp_lt_u32 s82, s66                                      // 0000000061DC: BF0A4252
	s_cselect_b32 s20, s36, s60                                // 0000000061E0: 85143C24
	v_readlane_b32 s82, v3, 9                                  // 0000000061E4: D2890052 00011303
	s_and_b32 s82, s82, 0xffffff                               // 0000000061EC: 8652FF52 00FFFFFF
	s_cmp_lt_u32 s82, s66                                      // 0000000061F4: BF0A4252
	s_cselect_b32 s21, s36, s60                                // 0000000061F8: 85153C24
	s_mov_b64 exec, s[20:21]                                   // 0000000061FC: BEFE0114
	global_atomic_add_f32 v6, v104, s[8:9]                     // 000000006200: DD348000 00086806
	global_atomic_add_f32 v6, v108, s[8:9] offset:256          // 000000006208: DD348100 00086C06
	s_mov_b64 exec, s[36:37]                                   // 000000006210: BEFE0124
	v_mov_b32_e32 v6, v49                                      // 000000006214: 7E0C0331
	s_mov_b64 s[60:61], 0                                      // 000000006218: BEBC0180
	v_readlane_b32 s82, v3, 10                                 // 00000000621C: D2890052 00011503
	s_and_b32 s82, s82, 0xffffff                               // 000000006224: 8652FF52 00FFFFFF
	s_cmp_lt_u32 s82, s66                                      // 00000000622C: BF0A4252
	s_cselect_b32 s20, s36, s60                                // 000000006230: 85143C24
	v_readlane_b32 s82, v3, 11                                 // 000000006234: D2890052 00011703
	s_and_b32 s82, s82, 0xffffff                               // 00000000623C: 8652FF52 00FFFFFF
	s_cmp_lt_u32 s82, s66                                      // 000000006244: BF0A4252
	s_cselect_b32 s21, s36, s60                                // 000000006248: 85153C24
	s_mov_b64 exec, s[20:21]                                   // 00000000624C: BEFE0114
	global_atomic_add_f32 v6, v105, s[8:9]                     // 000000006250: DD348000 00086906
	global_atomic_add_f32 v6, v109, s[8:9] offset:256          // 000000006258: DD348100 00086D06
	s_mov_b64 exec, s[36:37]                                   // 000000006260: BEFE0124
	v_mov_b32_e32 v6, v50                                      // 000000006264: 7E0C0332
	s_mov_b64 s[60:61], 0                                      // 000000006268: BEBC0180
	v_readlane_b32 s82, v3, 12                                 // 00000000626C: D2890052 00011903
	s_and_b32 s82, s82, 0xffffff                               // 000000006274: 8652FF52 00FFFFFF
	s_cmp_lt_u32 s82, s66                                      // 00000000627C: BF0A4252
	s_cselect_b32 s20, s36, s60                                // 000000006280: 85143C24
	v_readlane_b32 s82, v3, 13                                 // 000000006284: D2890052 00011B03
	s_and_b32 s82, s82, 0xffffff                               // 00000000628C: 8652FF52 00FFFFFF
	s_cmp_lt_u32 s82, s66                                      // 000000006294: BF0A4252
	s_cselect_b32 s21, s36, s60                                // 000000006298: 85153C24
	s_mov_b64 exec, s[20:21]                                   // 00000000629C: BEFE0114
	global_atomic_add_f32 v6, v112, s[8:9]                     // 0000000062A0: DD348000 00087006
	global_atomic_add_f32 v6, v116, s[8:9] offset:256          // 0000000062A8: DD348100 00087406
	s_mov_b64 exec, s[36:37]                                   // 0000000062B0: BEFE0124
	v_mov_b32_e32 v6, v51                                      // 0000000062B4: 7E0C0333
	s_mov_b64 s[60:61], 0                                      // 0000000062B8: BEBC0180
	v_readlane_b32 s82, v3, 14                                 // 0000000062BC: D2890052 00011D03
	s_and_b32 s82, s82, 0xffffff                               // 0000000062C4: 8652FF52 00FFFFFF
	s_cmp_lt_u32 s82, s66                                      // 0000000062CC: BF0A4252
	s_cselect_b32 s20, s36, s60                                // 0000000062D0: 85143C24
	v_readlane_b32 s82, v3, 15                                 // 0000000062D4: D2890052 00011F03
	s_and_b32 s82, s82, 0xffffff                               // 0000000062DC: 8652FF52 00FFFFFF
	s_cmp_lt_u32 s82, s66                                      // 0000000062E4: BF0A4252
	s_cselect_b32 s21, s36, s60                                // 0000000062E8: 85153C24
	s_mov_b64 exec, s[20:21]                                   // 0000000062EC: BEFE0114
	global_atomic_add_f32 v6, v113, s[8:9]                     // 0000000062F0: DD348000 00087106
	global_atomic_add_f32 v6, v117, s[8:9] offset:256          // 0000000062F8: DD348100 00087506
	s_mov_b64 exec, s[36:37]                                   // 000000006300: BEFE0124
	ds_write_b64 v20, v[90:91]                                 // 000000006304: D89A0000 00005A14
	ds_write_b64 v20, v[94:95] offset:4352                     // 00000000630C: D89A1100 00005E14
	ds_write_b64 v20, v[98:99] offset:8704                     // 000000006314: D89A2200 00006214
	ds_write_b64 v20, v[102:103] offset:13056                  // 00000000631C: D89A3300 00006614
	ds_write_b64 v20, v[106:107] offset:2176                   // 000000006324: D89A0880 00006A14
	ds_write_b64 v20, v[110:111] offset:6528                   // 00000000632C: D89A1980 00006E14
	ds_write_b64 v20, v[114:115] offset:10880                  // 000000006334: D89A2A80 00007214
	ds_write_b64 v20, v[118:119] offset:15232                  // 00000000633C: D89A3B80 00007614
	s_waitcnt lgkmcnt(0)                                       // 000000006344: BF8CC07F
	s_barrier                                                  // 000000006348: BF8A0000
	ds_read_b32 v90, v21                                       // 00000000634C: D86C0000 5A000015
	ds_read_b32 v91, v21 offset:64                             // 000000006354: D86C0040 5B000015
	ds_read_b32 v94, v21 offset:2176                           // 00000000635C: D86C0880 5E000015
	ds_read_b32 v95, v21 offset:2240                           // 000000006364: D86C08C0 5F000015
	ds_read_b32 v98, v21 offset:4352                           // 00000000636C: D86C1100 62000015
	ds_read_b32 v99, v21 offset:4416                           // 000000006374: D86C1140 63000015
	ds_read_b32 v102, v21 offset:6528                          // 00000000637C: D86C1980 66000015
	ds_read_b32 v103, v21 offset:6592                          // 000000006384: D86C19C0 67000015
	ds_read_b32 v106, v21 offset:8704                          // 00000000638C: D86C2200 6A000015
	ds_read_b32 v107, v21 offset:8768                          // 000000006394: D86C2240 6B000015
	ds_read_b32 v110, v21 offset:10880                         // 00000000639C: D86C2A80 6E000015
	ds_read_b32 v111, v21 offset:10944                         // 0000000063A4: D86C2AC0 6F000015
	ds_read_b32 v114, v21 offset:13056                         // 0000000063AC: D86C3300 72000015
	ds_read_b32 v115, v21 offset:13120                         // 0000000063B4: D86C3340 73000015
	ds_read_b32 v118, v21 offset:15232                         // 0000000063BC: D86C3B80 76000015
	ds_read_b32 v119, v21 offset:15296                         // 0000000063C4: D86C3BC0 77000015
	s_waitcnt lgkmcnt(0)                                       // 0000000063CC: BF8CC07F
	v_mov_b32_e32 v7, 0                                        // 0000000063D0: 7E0E0280
	s_mov_b64 exec, s[36:37]                                   // 0000000063D4: BEFE0124
	v_mov_b32_e32 v6, v44                                      // 0000000063D8: 7E0C032C
	s_mov_b64 s[60:61], 0                                      // 0000000063DC: BEBC0180
	v_readlane_b32 s82, v3, 0                                  // 0000000063E0: D2890052 00010103
	s_and_b32 s82, s82, 0xffffff                               // 0000000063E8: 8652FF52 00FFFFFF
	s_cmp_lt_u32 s82, s66                                      // 0000000063F0: BF0A4252
	s_cselect_b32 s20, s36, s60                                // 0000000063F4: 85143C24
	v_readlane_b32 s82, v3, 1                                  // 0000000063F8: D2890052 00010303
	s_and_b32 s82, s82, 0xffffff                               // 000000006400: 8652FF52 00FFFFFF
	s_cmp_lt_u32 s82, s66                                      // 000000006408: BF0A4252
	s_cselect_b32 s21, s36, s60                                // 00000000640C: 85153C24
	s_mov_b64 exec, s[20:21]                                   // 000000006410: BEFE0114
	global_atomic_add_f32 v6, v90, s[8:9] offset:8             // 000000006414: DD348008 00085A06
	global_atomic_add_f32 v6, v94, s[8:9] offset:264           // 00000000641C: DD348108 00085E06
	s_mov_b64 exec, s[36:37]                                   // 000000006424: BEFE0124
	v_mov_b32_e32 v6, v45                                      // 000000006428: 7E0C032D
	s_mov_b64 s[60:61], 0                                      // 00000000642C: BEBC0180
	v_readlane_b32 s82, v3, 2                                  // 000000006430: D2890052 00010503
	s_and_b32 s82, s82, 0xffffff                               // 000000006438: 8652FF52 00FFFFFF
	s_cmp_lt_u32 s82, s66                                      // 000000006440: BF0A4252
	s_cselect_b32 s20, s36, s60                                // 000000006444: 85143C24
	v_readlane_b32 s82, v3, 3                                  // 000000006448: D2890052 00010703
	s_and_b32 s82, s82, 0xffffff                               // 000000006450: 8652FF52 00FFFFFF
	s_cmp_lt_u32 s82, s66                                      // 000000006458: BF0A4252
	s_cselect_b32 s21, s36, s60                                // 00000000645C: 85153C24
	s_mov_b64 exec, s[20:21]                                   // 000000006460: BEFE0114
	global_atomic_add_f32 v6, v91, s[8:9] offset:8             // 000000006464: DD348008 00085B06
	global_atomic_add_f32 v6, v95, s[8:9] offset:264           // 00000000646C: DD348108 00085F06
	s_mov_b64 exec, s[36:37]                                   // 000000006474: BEFE0124
	v_mov_b32_e32 v6, v46                                      // 000000006478: 7E0C032E
	s_mov_b64 s[60:61], 0                                      // 00000000647C: BEBC0180
	v_readlane_b32 s82, v3, 4                                  // 000000006480: D2890052 00010903
	s_and_b32 s82, s82, 0xffffff                               // 000000006488: 8652FF52 00FFFFFF
	s_cmp_lt_u32 s82, s66                                      // 000000006490: BF0A4252
	s_cselect_b32 s20, s36, s60                                // 000000006494: 85143C24
	v_readlane_b32 s82, v3, 5                                  // 000000006498: D2890052 00010B03
	s_and_b32 s82, s82, 0xffffff                               // 0000000064A0: 8652FF52 00FFFFFF
	s_cmp_lt_u32 s82, s66                                      // 0000000064A8: BF0A4252
	s_cselect_b32 s21, s36, s60                                // 0000000064AC: 85153C24
	s_mov_b64 exec, s[20:21]                                   // 0000000064B0: BEFE0114
	global_atomic_add_f32 v6, v98, s[8:9] offset:8             // 0000000064B4: DD348008 00086206
	global_atomic_add_f32 v6, v102, s[8:9] offset:264          // 0000000064BC: DD348108 00086606
	s_mov_b64 exec, s[36:37]                                   // 0000000064C4: BEFE0124
	v_mov_b32_e32 v6, v47                                      // 0000000064C8: 7E0C032F
	s_mov_b64 s[60:61], 0                                      // 0000000064CC: BEBC0180
	v_readlane_b32 s82, v3, 6                                  // 0000000064D0: D2890052 00010D03
	s_and_b32 s82, s82, 0xffffff                               // 0000000064D8: 8652FF52 00FFFFFF
	s_cmp_lt_u32 s82, s66                                      // 0000000064E0: BF0A4252
	s_cselect_b32 s20, s36, s60                                // 0000000064E4: 85143C24
	v_readlane_b32 s82, v3, 7                                  // 0000000064E8: D2890052 00010F03
	s_and_b32 s82, s82, 0xffffff                               // 0000000064F0: 8652FF52 00FFFFFF
	s_cmp_lt_u32 s82, s66                                      // 0000000064F8: BF0A4252
	s_cselect_b32 s21, s36, s60                                // 0000000064FC: 85153C24
	s_mov_b64 exec, s[20:21]                                   // 000000006500: BEFE0114
	global_atomic_add_f32 v6, v99, s[8:9] offset:8             // 000000006504: DD348008 00086306
	global_atomic_add_f32 v6, v103, s[8:9] offset:264          // 00000000650C: DD348108 00086706
	s_mov_b64 exec, s[36:37]                                   // 000000006514: BEFE0124
	v_mov_b32_e32 v6, v48                                      // 000000006518: 7E0C0330
	s_mov_b64 s[60:61], 0                                      // 00000000651C: BEBC0180
	v_readlane_b32 s82, v3, 8                                  // 000000006520: D2890052 00011103
	s_and_b32 s82, s82, 0xffffff                               // 000000006528: 8652FF52 00FFFFFF
	s_cmp_lt_u32 s82, s66                                      // 000000006530: BF0A4252
	s_cselect_b32 s20, s36, s60                                // 000000006534: 85143C24
	v_readlane_b32 s82, v3, 9                                  // 000000006538: D2890052 00011303
	s_and_b32 s82, s82, 0xffffff                               // 000000006540: 8652FF52 00FFFFFF
	s_cmp_lt_u32 s82, s66                                      // 000000006548: BF0A4252
	s_cselect_b32 s21, s36, s60                                // 00000000654C: 85153C24
	s_mov_b64 exec, s[20:21]                                   // 000000006550: BEFE0114
	global_atomic_add_f32 v6, v106, s[8:9] offset:8            // 000000006554: DD348008 00086A06
	global_atomic_add_f32 v6, v110, s[8:9] offset:264          // 00000000655C: DD348108 00086E06
	s_mov_b64 exec, s[36:37]                                   // 000000006564: BEFE0124
	v_mov_b32_e32 v6, v49                                      // 000000006568: 7E0C0331
	s_mov_b64 s[60:61], 0                                      // 00000000656C: BEBC0180
	v_readlane_b32 s82, v3, 10                                 // 000000006570: D2890052 00011503
	s_and_b32 s82, s82, 0xffffff                               // 000000006578: 8652FF52 00FFFFFF
	s_cmp_lt_u32 s82, s66                                      // 000000006580: BF0A4252
	s_cselect_b32 s20, s36, s60                                // 000000006584: 85143C24
	v_readlane_b32 s82, v3, 11                                 // 000000006588: D2890052 00011703
	s_and_b32 s82, s82, 0xffffff                               // 000000006590: 8652FF52 00FFFFFF
	s_cmp_lt_u32 s82, s66                                      // 000000006598: BF0A4252
	s_cselect_b32 s21, s36, s60                                // 00000000659C: 85153C24
	s_mov_b64 exec, s[20:21]                                   // 0000000065A0: BEFE0114
	global_atomic_add_f32 v6, v107, s[8:9] offset:8            // 0000000065A4: DD348008 00086B06
	global_atomic_add_f32 v6, v111, s[8:9] offset:264          // 0000000065AC: DD348108 00086F06
	s_mov_b64 exec, s[36:37]                                   // 0000000065B4: BEFE0124
	v_mov_b32_e32 v6, v50                                      // 0000000065B8: 7E0C0332
	s_mov_b64 s[60:61], 0                                      // 0000000065BC: BEBC0180
	v_readlane_b32 s82, v3, 12                                 // 0000000065C0: D2890052 00011903
	s_and_b32 s82, s82, 0xffffff                               // 0000000065C8: 8652FF52 00FFFFFF
	s_cmp_lt_u32 s82, s66                                      // 0000000065D0: BF0A4252
	s_cselect_b32 s20, s36, s60                                // 0000000065D4: 85143C24
	v_readlane_b32 s82, v3, 13                                 // 0000000065D8: D2890052 00011B03
	s_and_b32 s82, s82, 0xffffff                               // 0000000065E0: 8652FF52 00FFFFFF
	s_cmp_lt_u32 s82, s66                                      // 0000000065E8: BF0A4252
	s_cselect_b32 s21, s36, s60                                // 0000000065EC: 85153C24
	s_mov_b64 exec, s[20:21]                                   // 0000000065F0: BEFE0114
	global_atomic_add_f32 v6, v114, s[8:9] offset:8            // 0000000065F4: DD348008 00087206
	global_atomic_add_f32 v6, v118, s[8:9] offset:264          // 0000000065FC: DD348108 00087606
	s_mov_b64 exec, s[36:37]                                   // 000000006604: BEFE0124
	v_mov_b32_e32 v6, v51                                      // 000000006608: 7E0C0333
	s_mov_b64 s[60:61], 0                                      // 00000000660C: BEBC0180
	v_readlane_b32 s82, v3, 14                                 // 000000006610: D2890052 00011D03
	s_and_b32 s82, s82, 0xffffff                               // 000000006618: 8652FF52 00FFFFFF
	s_cmp_lt_u32 s82, s66                                      // 000000006620: BF0A4252
	s_cselect_b32 s20, s36, s60                                // 000000006624: 85143C24
	v_readlane_b32 s82, v3, 15                                 // 000000006628: D2890052 00011F03
	s_and_b32 s82, s82, 0xffffff                               // 000000006630: 8652FF52 00FFFFFF
	s_cmp_lt_u32 s82, s66                                      // 000000006638: BF0A4252
	s_cselect_b32 s21, s36, s60                                // 00000000663C: 85153C24
	s_mov_b64 exec, s[20:21]                                   // 000000006640: BEFE0114
	global_atomic_add_f32 v6, v115, s[8:9] offset:8            // 000000006644: DD348008 00087306
	global_atomic_add_f32 v6, v119, s[8:9] offset:264          // 00000000664C: DD348108 00087706
	s_mov_b64 exec, s[36:37]                                   // 000000006654: BEFE0124
	s_branch label_1BC2                                        // 000000006658: BF820CA8

000000000000665c <label_0F1A>:
	s_waitcnt vmcnt(2) lgkmcnt(0)                              // 00000000665C: BF8C0072
	s_barrier                                                  // 000000006660: BF8A0000
	v_mov_b32_e32 v40, v32                                     // 000000006664: 7E500320
	v_mov_b32_e32 v41, v33                                     // 000000006668: 7E520321
	v_mov_b32_e32 v42, v34                                     // 00000000666C: 7E540322
	v_mov_b32_e32 v43, v35                                     // 000000006670: 7E560323
	v_mul_f32_dpp v4, v24, v40 row_newbcast:0 row_mask:0xf bank_mask:0xf// 000000006674: 0A0850FA FF015018
	v_mfma_f32_16x16x32_fp8_fp8 v[8:11], a[64:65], a[0:1], 0   // 00000000667C: D3F30008 1A020140
	buffer_load_dword v27, v23, s[32:35], 0 offen              // 000000006684: E0501000 80081B17
	buffer_load_dwordx4 a[80:83], v52, s[84:87], 0 offen       // 00000000668C: E05C1000 80955034
	v_mfma_f32_16x16x32_fp8_fp8 v[8:11], a[66:67], a[2:3], v[8:11]// 000000006694: D3F30008 1C220542
	v_mfma_f32_16x16x32_fp8_fp8 v[8:11], a[68:69], a[4:5], v[8:11]// 00000000669C: D3F30008 1C220944
	v_mfma_f32_16x16x32_fp8_fp8 v[8:11], a[70:71], a[6:7], v[8:11]// 0000000066A4: D3F30008 1C220D46
	v_mul_f32_dpp v6, v24, v41 row_newbcast:0 row_mask:0xf bank_mask:0xf// 0000000066AC: 0A0C52FA FF015018
	v_mfma_f32_16x16x32_fp8_fp8 v[12:15], a[64:65], a[8:9], 0  // 0000000066B4: D3F3000C 1A021140
	buffer_load_dwordx4 a[84:87], v52, s[84:87], 0 offen offset:1024// 0000000066BC: E05C1400 80955434
	v_mfma_f32_16x16x32_fp8_fp8 v[12:15], a[66:67], a[10:11], v[12:15]// 0000000066C4: D3F3000C 1C321542
	v_mfma_f32_16x16x32_fp8_fp8 v[12:15], a[68:69], a[12:13], v[12:15]// 0000000066CC: D3F3000C 1C321944
	v_mfma_f32_16x16x32_fp8_fp8 v[12:15], a[70:71], a[14:15], v[12:15]// 0000000066D4: D3F3000C 1C321D46
	v_fma_f32 v56, v8, v4, v56                                 // 0000000066DC: D1CB0038 04E20908
	v_fma_f32 v57, v9, v4, v57                                 // 0000000066E4: D1CB0039 04E60909
	v_fma_f32 v58, v10, v4, v58                                // 0000000066EC: D1CB003A 04EA090A
	v_fma_f32 v59, v11, v4, v59                                // 0000000066F4: D1CB003B 04EE090B
	v_mul_f32_dpp v4, v24, v42 row_newbcast:0 row_mask:0xf bank_mask:0xf// 0000000066FC: 0A0854FA FF015018
	v_mfma_f32_16x16x32_fp8_fp8 v[8:11], a[64:65], a[16:17], 0 // 000000006704: D3F30008 1A022140
	buffer_load_dwordx4 a[88:91], v53, s[84:87], 0 offen       // 00000000670C: E05C1000 80955835
	v_mfma_f32_16x16x32_fp8_fp8 v[8:11], a[66:67], a[18:19], v[8:11]// 000000006714: D3F30008 1C222542
	v_mfma_f32_16x16x32_fp8_fp8 v[8:11], a[68:69], a[20:21], v[8:11]// 00000000671C: D3F30008 1C222944
	v_mfma_f32_16x16x32_fp8_fp8 v[8:11], a[70:71], a[22:23], v[8:11]// 000000006724: D3F30008 1C222D46
	v_fma_f32 v60, v12, v6, v60                                // 00000000672C: D1CB003C 04F20D0C
	v_fma_f32 v61, v13, v6, v61                                // 000000006734: D1CB003D 04F60D0D
	v_fma_f32 v62, v14, v6, v62                                // 00000000673C: D1CB003E 04FA0D0E
	v_fma_f32 v63, v15, v6, v63                                // 000000006744: D1CB003F 04FE0D0F
	v_mul_f32_dpp v6, v24, v43 row_newbcast:0 row_mask:0xf bank_mask:0xf// 00000000674C: 0A0C56FA FF015018
	v_mfma_f32_16x16x32_fp8_fp8 v[12:15], a[64:65], a[24:25], 0// 000000006754: D3F3000C 1A023140
	buffer_load_dwordx4 a[92:95], v53, s[84:87], 0 offen offset:1024// 00000000675C: E05C1400 80955C35
	buffer_load_dword v44, s[20:23], 0 offen lds               // 000000006764: E0511000 8005002C
	s_add_u32 m0, 0x100, s48                                   // 00000000676C: 807C30FF 00000100
	v_mfma_f32_16x16x32_fp8_fp8 v[12:15], a[66:67], a[26:27], v[12:15]// 000000006774: D3F3000C 1C323542
	v_mfma_f32_16x16x32_fp8_fp8 v[12:15], a[68:69], a[28:29], v[12:15]// 00000000677C: D3F3000C 1C323944
	buffer_load_dword v45, s[20:23], 0 offen lds               // 000000006784: E0511000 8005002D
	s_add_u32 m0, 0x200, s48                                   // 00000000678C: 807C30FF 00000200
	v_mfma_f32_16x16x32_fp8_fp8 v[12:15], a[70:71], a[30:31], v[12:15]// 000000006794: D3F3000C 1C323D46
	v_fma_f32 v64, v8, v4, v64                                 // 00000000679C: D1CB0040 05020908
	v_fma_f32 v65, v9, v4, v65                                 // 0000000067A4: D1CB0041 05060909
	v_fma_f32 v66, v10, v4, v66                                // 0000000067AC: D1CB0042 050A090A
	v_fma_f32 v67, v11, v4, v67                                // 0000000067B4: D1CB0043 050E090B
	s_waitcnt vmcnt(7)                                         // 0000000067BC: BF8C0F77
	v_mul_f32_dpp v4, v24, v40 row_newbcast:0 row_mask:0xf bank_mask:0xf// 0000000067C0: 0A0850FA FF015018
	v_mfma_f32_16x16x32_fp8_fp8 v[8:11], a[72:73], a[0:1], 0   // 0000000067C8: D3F30008 1A020148
	buffer_load_dword v46, s[20:23], 0 offen lds               // 0000000067D0: E0511000 8005002E
	s_add_u32 m0, 0x300, s48                                   // 0000000067D8: 807C30FF 00000300
	v_mfma_f32_16x16x32_fp8_fp8 v[8:11], a[74:75], a[2:3], v[8:11]// 0000000067E0: D3F30008 1C22054A
	v_mfma_f32_16x16x32_fp8_fp8 v[8:11], a[76:77], a[4:5], v[8:11]// 0000000067E8: D3F30008 1C22094C
	buffer_load_dword v47, s[20:23], 0 offen lds               // 0000000067F0: E0511000 8005002F
	s_add_u32 m0, 0x400, s48                                   // 0000000067F8: 807C30FF 00000400
	v_mfma_f32_16x16x32_fp8_fp8 v[8:11], a[78:79], a[6:7], v[8:11]// 000000006800: D3F30008 1C220D4E
	v_fma_f32 v68, v12, v6, v68                                // 000000006808: D1CB0044 05120D0C
	v_fma_f32 v69, v13, v6, v69                                // 000000006810: D1CB0045 05160D0D
	v_fma_f32 v70, v14, v6, v70                                // 000000006818: D1CB0046 051A0D0E
	v_fma_f32 v71, v15, v6, v71                                // 000000006820: D1CB0047 051E0D0F
	v_mul_f32_dpp v6, v24, v41 row_newbcast:0 row_mask:0xf bank_mask:0xf// 000000006828: 0A0C52FA FF015018
	v_mfma_f32_16x16x32_fp8_fp8 v[12:15], a[72:73], a[8:9], 0  // 000000006830: D3F3000C 1A021148
	buffer_load_dword v48, s[20:23], 0 offen lds               // 000000006838: E0511000 80050030
	s_add_u32 m0, 0x500, s48                                   // 000000006840: 807C30FF 00000500
	v_mfma_f32_16x16x32_fp8_fp8 v[12:15], a[74:75], a[10:11], v[12:15]// 000000006848: D3F3000C 1C32154A
	v_mfma_f32_16x16x32_fp8_fp8 v[12:15], a[76:77], a[12:13], v[12:15]// 000000006850: D3F3000C 1C32194C
	buffer_load_dword v49, s[20:23], 0 offen lds               // 000000006858: E0511000 80050031
	s_add_u32 m0, 0x600, s48                                   // 000000006860: 807C30FF 00000600
	v_mfma_f32_16x16x32_fp8_fp8 v[12:15], a[78:79], a[14:15], v[12:15]// 000000006868: D3F3000C 1C321D4E
	v_fma_f32 v72, v8, v4, v72                                 // 000000006870: D1CB0048 05220908
	v_fma_f32 v73, v9, v4, v73                                 // 000000006878: D1CB0049 05260909
	v_fma_f32 v74, v10, v4, v74                                // 000000006880: D1CB004A 052A090A
	v_fma_f32 v75, v11, v4, v75                                // 000000006888: D1CB004B 052E090B
	v_mul_f32_dpp v4, v24, v42 row_newbcast:0 row_mask:0xf bank_mask:0xf// 000000006890: 0A0854FA FF015018
	v_mfma_f32_16x16x32_fp8_fp8 v[8:11], a[72:73], a[16:17], 0 // 000000006898: D3F30008 1A022148
	buffer_load_dword v50, s[20:23], 0 offen lds               // 0000000068A0: E0511000 80050032
	s_add_u32 m0, 0x700, s48                                   // 0000000068A8: 807C30FF 00000700
	v_mfma_f32_16x16x32_fp8_fp8 v[8:11], a[74:75], a[18:19], v[8:11]// 0000000068B0: D3F30008 1C22254A
	v_mfma_f32_16x16x32_fp8_fp8 v[8:11], a[76:77], a[20:21], v[8:11]// 0000000068B8: D3F30008 1C22294C
	buffer_load_dword v51, s[20:23], 0 offen lds               // 0000000068C0: E0511000 80050033
	s_add_u32 m0, 0, s49                                       // 0000000068C8: 807C3180
	v_mfma_f32_16x16x32_fp8_fp8 v[8:11], a[78:79], a[22:23], v[8:11]// 0000000068CC: D3F30008 1C222D4E
	v_fma_f32 v76, v12, v6, v76                                // 0000000068D4: D1CB004C 05320D0C
	v_fma_f32 v77, v13, v6, v77                                // 0000000068DC: D1CB004D 05360D0D
	v_fma_f32 v78, v14, v6, v78                                // 0000000068E4: D1CB004E 053A0D0E
	v_fma_f32 v79, v15, v6, v79                                // 0000000068EC: D1CB004F 053E0D0F
	v_mul_f32_dpp v6, v24, v43 row_newbcast:0 row_mask:0xf bank_mask:0xf// 0000000068F4: 0A0C56FA FF015018
	v_mfma_f32_16x16x32_fp8_fp8 v[12:15], a[72:73], a[24:25], 0// 0000000068FC: D3F3000C 1A023148
	buffer_load_dword v32, v28, s[28:31], 0 offen              // 000000006904: E0501000 8007201C
	v_mfma_f32_16x16x32_fp8_fp8 v[12:15], a[74:75], a[26:27], v[12:15]// 00000000690C: D3F3000C 1C32354A
	s_add_u32 s60, 0x80, s80                                   // 000000006914: 803C50FF 00000080
	s_cmp_lt_u32 s60, s81                                      // 00000000691C: BF0A513C
	s_cselect_b32 s83, s83, 0                                  // 000000006920: 85538053
	s_cselect_b32 s4, s4, 0                                    // 000000006924: 85048004
	v_mfma_f32_16x16x32_fp8_fp8 v[12:15], a[76:77], a[28:29], v[12:15]// 000000006928: D3F3000C 1C32394C
	buffer_load_dword v33, v29, s[28:31], 0 offen              // 000000006930: E0501000 8007211D
	s_add_u32 s32, s4, s32                                     // 000000006938: 80202004
	s_addc_u32 s33, 0, s33                                     // 00000000693C: 82212180
	v_mfma_f32_16x16x32_fp8_fp8 v[12:15], a[78:79], a[30:31], v[12:15]// 000000006940: D3F3000C 1C323D4E
	v_fma_f32 v80, v8, v4, v80                                 // 000000006948: D1CB0050 05420908
	v_fma_f32 v81, v9, v4, v81                                 // 000000006950: D1CB0051 05460909
	v_fma_f32 v82, v10, v4, v82                                // 000000006958: D1CB0052 054A090A
	v_fma_f32 v83, v11, v4, v83                                // 000000006960: D1CB0053 054E090B
	v_fma_f32 v84, v12, v6, v84                                // 000000006968: D1CB0054 05520D0C
	v_fma_f32 v85, v13, v6, v85                                // 000000006970: D1CB0055 05560D0D
	v_fma_f32 v86, v14, v6, v86                                // 000000006978: D1CB0056 055A0D0E
	v_fma_f32 v87, v15, v6, v87                                // 000000006980: D1CB0057 055E0D0F
	buffer_load_dword v34, v30, s[28:31], 0 offen              // 000000006988: E0501000 8007221E
	buffer_load_dword v35, v31, s[28:31], 0 offen              // 000000006990: E0501000 8007231F
	s_waitcnt vmcnt(12)                                        // 000000006998: BF8C0F7C
	v_mul_f32_dpp v4, v27, v40 row_newbcast:0 row_mask:0xf bank_mask:0xf// 00000000699C: 0A0850FA FF01501B
	v_mfma_f32_16x16x32_fp8_fp8 v[8:11], a[80:81], a[0:1], 0   // 0000000069A4: D3F30008 1A020150
	buffer_load_dword v24, v22, s[32:35], 0 offen              // 0000000069AC: E0501000 80081816
	buffer_load_dwordx4 a[64:67], v52, s[24:27], 0 offen       // 0000000069B4: E05C1000 80864034
	v_mfma_f32_16x16x32_fp8_fp8 v[8:11], a[82:83], a[2:3], v[8:11]// 0000000069BC: D3F30008 1C220552
	v_mfma_f32_16x16x32_fp8_fp8 v[8:11], a[84:85], a[4:5], v[8:11]// 0000000069C4: D3F30008 1C220954
	ds_read_b128 a[32:35], v2 offset:8320                      // 0000000069CC: DBFE2080 20000002
	ds_read_b128 a[36:39], v2 offset:8384                      // 0000000069D4: DBFE20C0 24000002
	v_mfma_f32_16x16x32_fp8_fp8 v[8:11], a[86:87], a[6:7], v[8:11]// 0000000069DC: D3F30008 1C220D56
	v_mfma_f32_16x16x32_fp8_fp8 v[12:15], a[88:89], a[0:1], 0  // 0000000069E4: D3F3000C 1A020158
	buffer_load_dwordx4 a[68:71], v52, s[24:27], 0 offen offset:1024// 0000000069EC: E05C1400 80864434
	v_mfma_f32_16x16x32_fp8_fp8 v[12:15], a[90:91], a[2:3], v[12:15]// 0000000069F4: D3F3000C 1C32055A
	v_mfma_f32_16x16x32_fp8_fp8 v[12:15], a[92:93], a[4:5], v[12:15]// 0000000069FC: D3F3000C 1C32095C
	ds_read_b128 a[40:43], v2 offset:8832                      // 000000006A04: DBFE2280 28000002
	ds_read_b128 a[44:47], v2 offset:8896                      // 000000006A0C: DBFE22C0 2C000002
	v_mfma_f32_16x16x32_fp8_fp8 v[12:15], a[94:95], a[6:7], v[12:15]// 000000006A14: D3F3000C 1C320D5E
	v_fma_f32 v88, v8, v4, v88                                 // 000000006A1C: D1CB0058 05620908
	v_fma_f32 v89, v9, v4, v89                                 // 000000006A24: D1CB0059 05660909
	v_fma_f32 v90, v10, v4, v90                                // 000000006A2C: D1CB005A 056A090A
	v_fma_f32 v91, v11, v4, v91                                // 000000006A34: D1CB005B 056E090B
	v_mul_f32_dpp v6, v27, v41 row_newbcast:0 row_mask:0xf bank_mask:0xf// 000000006A3C: 0A0C52FA FF01501B
	v_mfma_f32_16x16x32_fp8_fp8 v[8:11], a[80:81], a[8:9], 0   // 000000006A44: D3F30008 1A021150
	buffer_load_dwordx4 a[72:75], v53, s[24:27], 0 offen       // 000000006A4C: E05C1000 80864835
	v_mfma_f32_16x16x32_fp8_fp8 v[8:11], a[82:83], a[10:11], v[8:11]// 000000006A54: D3F30008 1C221552
	v_mfma_f32_16x16x32_fp8_fp8 v[8:11], a[84:85], a[12:13], v[8:11]// 000000006A5C: D3F30008 1C221954
	ds_read_b128 a[48:51], v2 offset:9344                      // 000000006A64: DBFE2480 30000002
	ds_read_b128 a[52:55], v2 offset:9408                      // 000000006A6C: DBFE24C0 34000002
	v_mfma_f32_16x16x32_fp8_fp8 v[8:11], a[86:87], a[14:15], v[8:11]// 000000006A74: D3F30008 1C221D56
	v_fma_f32 v104, v12, v4, v104                              // 000000006A7C: D1CB0068 05A2090C
	v_fma_f32 v105, v13, v4, v105                              // 000000006A84: D1CB0069 05A6090D
	v_fma_f32 v106, v14, v4, v106                              // 000000006A8C: D1CB006A 05AA090E
	v_fma_f32 v107, v15, v4, v107                              // 000000006A94: D1CB006B 05AE090F
	v_mfma_f32_16x16x32_fp8_fp8 v[12:15], a[88:89], a[8:9], 0  // 000000006A9C: D3F3000C 1A021158
	buffer_load_dwordx4 a[76:79], v53, s[24:27], 0 offen offset:1024// 000000006AA4: E05C1400 80864C35
	v_mfma_f32_16x16x32_fp8_fp8 v[12:15], a[90:91], a[10:11], v[12:15]// 000000006AAC: D3F3000C 1C32155A
	v_mfma_f32_16x16x32_fp8_fp8 v[12:15], a[92:93], a[12:13], v[12:15]// 000000006AB4: D3F3000C 1C32195C
	ds_read_b128 a[56:59], v2 offset:9856                      // 000000006ABC: DBFE2680 38000002
	ds_read_b128 a[60:63], v2 offset:9920                      // 000000006AC4: DBFE26C0 3C000002
	v_mfma_f32_16x16x32_fp8_fp8 v[12:15], a[94:95], a[14:15], v[12:15]// 000000006ACC: D3F3000C 1C321D5E
	v_fma_f32 v92, v8, v6, v92                                 // 000000006AD4: D1CB005C 05720D08
	v_fma_f32 v93, v9, v6, v93                                 // 000000006ADC: D1CB005D 05760D09
	v_fma_f32 v94, v10, v6, v94                                // 000000006AE4: D1CB005E 057A0D0A
	v_fma_f32 v95, v11, v6, v95                                // 000000006AEC: D1CB005F 057E0D0B
	v_mul_f32_dpp v4, v27, v42 row_newbcast:0 row_mask:0xf bank_mask:0xf// 000000006AF4: 0A0854FA FF01501B
	v_mfma_f32_16x16x32_fp8_fp8 v[8:11], a[80:81], a[16:17], 0 // 000000006AFC: D3F30008 1A022150
	v_mfma_f32_16x16x32_fp8_fp8 v[8:11], a[82:83], a[18:19], v[8:11]// 000000006B04: D3F30008 1C222552
	v_mfma_f32_16x16x32_fp8_fp8 v[8:11], a[84:85], a[20:21], v[8:11]// 000000006B0C: D3F30008 1C222954
	v_mfma_f32_16x16x32_fp8_fp8 v[8:11], a[86:87], a[22:23], v[8:11]// 000000006B14: D3F30008 1C222D56
	v_fma_f32 v108, v12, v6, v108                              // 000000006B1C: D1CB006C 05B20D0C
	v_fma_f32 v109, v13, v6, v109                              // 000000006B24: D1CB006D 05B60D0D
	v_fma_f32 v110, v14, v6, v110                              // 000000006B2C: D1CB006E 05BA0D0E
	v_fma_f32 v111, v15, v6, v111                              // 000000006B34: D1CB006F 05BE0D0F
	v_mfma_f32_16x16x32_fp8_fp8 v[12:15], a[88:89], a[16:17], 0// 000000006B3C: D3F3000C 1A022158
	v_mfma_f32_16x16x32_fp8_fp8 v[12:15], a[90:91], a[18:19], v[12:15]// 000000006B44: D3F3000C 1C32255A
	v_mfma_f32_16x16x32_fp8_fp8 v[12:15], a[92:93], a[20:21], v[12:15]// 000000006B4C: D3F3000C 1C32295C
	v_mfma_f32_16x16x32_fp8_fp8 v[12:15], a[94:95], a[22:23], v[12:15]// 000000006B54: D3F3000C 1C322D5E
	v_fma_f32 v96, v8, v4, v96                                 // 000000006B5C: D1CB0060 05820908
	v_fma_f32 v97, v9, v4, v97                                 // 000000006B64: D1CB0061 05860909
	v_fma_f32 v98, v10, v4, v98                                // 000000006B6C: D1CB0062 058A090A
	v_fma_f32 v99, v11, v4, v99                                // 000000006B74: D1CB0063 058E090B
	v_mul_f32_dpp v6, v27, v43 row_newbcast:0 row_mask:0xf bank_mask:0xf// 000000006B7C: 0A0C56FA FF01501B
	v_mfma_f32_16x16x32_fp8_fp8 v[8:11], a[80:81], a[24:25], 0 // 000000006B84: D3F30008 1A023150
	v_mfma_f32_16x16x32_fp8_fp8 v[8:11], a[82:83], a[26:27], v[8:11]// 000000006B8C: D3F30008 1C223552
	v_mfma_f32_16x16x32_fp8_fp8 v[8:11], a[84:85], a[28:29], v[8:11]// 000000006B94: D3F30008 1C223954
	s_add_u32 s60, 0x180, s80                                  // 000000006B9C: 803C50FF 00000180
	s_cmp_lt_u32 s60, s81                                      // 000000006BA4: BF0A513C
	s_cselect_b32 s57, s57, 0                                  // 000000006BA8: 85398039
	s_cselect_b32 s3, s3, 0                                    // 000000006BAC: 85038003
	v_mfma_f32_16x16x32_fp8_fp8 v[8:11], a[86:87], a[30:31], v[8:11]// 000000006BB0: D3F30008 1C223D56
	s_add_u32 s60, 0x100, s80                                  // 000000006BB8: 803C50FF 00000100
	s_cmp_lt_u32 s60, s81                                      // 000000006BC0: BF0A513C
	s_cselect_b32 s58, s58, 0                                  // 000000006BC4: 853A803A
	v_fma_f32 v112, v12, v4, v112                              // 000000006BC8: D1CB0070 05C2090C
	v_fma_f32 v113, v13, v4, v113                              // 000000006BD0: D1CB0071 05C6090D
	v_fma_f32 v114, v14, v4, v114                              // 000000006BD8: D1CB0072 05CA090E
	v_fma_f32 v115, v15, v4, v115                              // 000000006BE0: D1CB0073 05CE090F
	v_mfma_f32_16x16x32_fp8_fp8 v[12:15], a[88:89], a[24:25], 0// 000000006BE8: D3F3000C 1A023158
	s_add_u32 s24, s58, s24                                    // 000000006BF0: 8018183A
	s_addc_u32 s25, 0, s25                                     // 000000006BF4: 82191980
	v_mfma_f32_16x16x32_fp8_fp8 v[12:15], a[90:91], a[26:27], v[12:15]// 000000006BF8: D3F3000C 1C32355A
	s_add_u32 s20, s57, s20                                    // 000000006C00: 80141439
	s_addc_u32 s21, 0, s21                                     // 000000006C04: 82151580
	s_add_u32 s28, s3, s28                                     // 000000006C08: 801C1C03
	s_addc_u32 s29, 0, s29                                     // 000000006C0C: 821D1D80
	v_mfma_f32_16x16x32_fp8_fp8 v[12:15], a[92:93], a[28:29], v[12:15]// 000000006C10: D3F3000C 1C32395C
	s_add_u32 s84, s83, s84                                    // 000000006C18: 80545453
	s_addc_u32 s85, 0, s85                                     // 000000006C1C: 82555580
	v_mfma_f32_16x16x32_fp8_fp8 v[12:15], a[94:95], a[30:31], v[12:15]// 000000006C20: D3F3000C 1C323D5E
	v_fma_f32 v100, v8, v6, v100                               // 000000006C28: D1CB0064 05920D08
	v_fma_f32 v101, v9, v6, v101                               // 000000006C30: D1CB0065 05960D09
	v_fma_f32 v102, v10, v6, v102                              // 000000006C38: D1CB0066 059A0D0A
	v_fma_f32 v103, v11, v6, v103                              // 000000006C40: D1CB0067 059E0D0B
	v_fma_f32 v116, v12, v6, v116                              // 000000006C48: D1CB0074 05D20D0C
	v_fma_f32 v117, v13, v6, v117                              // 000000006C50: D1CB0075 05D60D0D
	v_fma_f32 v118, v14, v6, v118                              // 000000006C58: D1CB0076 05DA0D0E
	v_fma_f32 v119, v15, v6, v119                              // 000000006C60: D1CB0077 05DE0D0F
	s_addk_i32 s80, 0x80                                       // 000000006C68: B7500080
	s_cmp_lt_i32 s80, s81                                      // 000000006C6C: BF045150
	s_cbranch_scc0 label_1227                                  // 000000006C70: BF840187
	s_waitcnt vmcnt(2) lgkmcnt(0)                              // 000000006C74: BF8C0072
	s_barrier                                                  // 000000006C78: BF8A0000
	v_mov_b32_e32 v40, v36                                     // 000000006C7C: 7E500324
	v_mov_b32_e32 v41, v37                                     // 000000006C80: 7E520325
	v_mov_b32_e32 v42, v38                                     // 000000006C84: 7E540326
	v_mov_b32_e32 v43, v39                                     // 000000006C88: 7E560327
	v_mul_f32_dpp v4, v24, v40 row_newbcast:0 row_mask:0xf bank_mask:0xf// 000000006C8C: 0A0850FA FF015018
	v_mfma_f32_16x16x32_fp8_fp8 v[8:11], a[64:65], a[32:33], 0 // 000000006C94: D3F30008 1A024140
	buffer_load_dword v27, v23, s[32:35], 0 offen              // 000000006C9C: E0501000 80081B17
	buffer_load_dwordx4 a[80:83], v52, s[84:87], 0 offen       // 000000006CA4: E05C1000 80955034
	v_mfma_f32_16x16x32_fp8_fp8 v[8:11], a[66:67], a[34:35], v[8:11]// 000000006CAC: D3F30008 1C224542
	v_mfma_f32_16x16x32_fp8_fp8 v[8:11], a[68:69], a[36:37], v[8:11]// 000000006CB4: D3F30008 1C224944
	v_mfma_f32_16x16x32_fp8_fp8 v[8:11], a[70:71], a[38:39], v[8:11]// 000000006CBC: D3F30008 1C224D46
	v_mul_f32_dpp v6, v24, v41 row_newbcast:0 row_mask:0xf bank_mask:0xf// 000000006CC4: 0A0C52FA FF015018
	v_mfma_f32_16x16x32_fp8_fp8 v[12:15], a[64:65], a[40:41], 0// 000000006CCC: D3F3000C 1A025140
	buffer_load_dwordx4 a[84:87], v52, s[84:87], 0 offen offset:1024// 000000006CD4: E05C1400 80955434
	v_mfma_f32_16x16x32_fp8_fp8 v[12:15], a[66:67], a[42:43], v[12:15]// 000000006CDC: D3F3000C 1C325542
	v_mfma_f32_16x16x32_fp8_fp8 v[12:15], a[68:69], a[44:45], v[12:15]// 000000006CE4: D3F3000C 1C325944
	v_mfma_f32_16x16x32_fp8_fp8 v[12:15], a[70:71], a[46:47], v[12:15]// 000000006CEC: D3F3000C 1C325D46
	v_fma_f32 v56, v8, v4, v56                                 // 000000006CF4: D1CB0038 04E20908
	v_fma_f32 v57, v9, v4, v57                                 // 000000006CFC: D1CB0039 04E60909
	v_fma_f32 v58, v10, v4, v58                                // 000000006D04: D1CB003A 04EA090A
	v_fma_f32 v59, v11, v4, v59                                // 000000006D0C: D1CB003B 04EE090B
	v_mul_f32_dpp v4, v24, v42 row_newbcast:0 row_mask:0xf bank_mask:0xf// 000000006D14: 0A0854FA FF015018
	v_mfma_f32_16x16x32_fp8_fp8 v[8:11], a[64:65], a[48:49], 0 // 000000006D1C: D3F30008 1A026140
	buffer_load_dwordx4 a[88:91], v53, s[84:87], 0 offen       // 000000006D24: E05C1000 80955835
	v_mfma_f32_16x16x32_fp8_fp8 v[8:11], a[66:67], a[50:51], v[8:11]// 000000006D2C: D3F30008 1C226542
	v_mfma_f32_16x16x32_fp8_fp8 v[8:11], a[68:69], a[52:53], v[8:11]// 000000006D34: D3F30008 1C226944
	v_mfma_f32_16x16x32_fp8_fp8 v[8:11], a[70:71], a[54:55], v[8:11]// 000000006D3C: D3F30008 1C226D46
	v_fma_f32 v60, v12, v6, v60                                // 000000006D44: D1CB003C 04F20D0C
	v_fma_f32 v61, v13, v6, v61                                // 000000006D4C: D1CB003D 04F60D0D
	v_fma_f32 v62, v14, v6, v62                                // 000000006D54: D1CB003E 04FA0D0E
	v_fma_f32 v63, v15, v6, v63                                // 000000006D5C: D1CB003F 04FE0D0F
	v_mul_f32_dpp v6, v24, v43 row_newbcast:0 row_mask:0xf bank_mask:0xf// 000000006D64: 0A0C56FA FF015018
	v_mfma_f32_16x16x32_fp8_fp8 v[12:15], a[64:65], a[56:57], 0// 000000006D6C: D3F3000C 1A027140
	buffer_load_dwordx4 a[92:95], v53, s[84:87], 0 offen offset:1024// 000000006D74: E05C1400 80955C35
	buffer_load_dword v44, s[20:23], 0 offen lds               // 000000006D7C: E0511000 8005002C
	s_add_u32 m0, 0x100, s49                                   // 000000006D84: 807C31FF 00000100
	v_mfma_f32_16x16x32_fp8_fp8 v[12:15], a[66:67], a[58:59], v[12:15]// 000000006D8C: D3F3000C 1C327542
	v_mfma_f32_16x16x32_fp8_fp8 v[12:15], a[68:69], a[60:61], v[12:15]// 000000006D94: D3F3000C 1C327944
	buffer_load_dword v45, s[20:23], 0 offen lds               // 000000006D9C: E0511000 8005002D
	s_add_u32 m0, 0x200, s49                                   // 000000006DA4: 807C31FF 00000200
	v_mfma_f32_16x16x32_fp8_fp8 v[12:15], a[70:71], a[62:63], v[12:15]// 000000006DAC: D3F3000C 1C327D46
	v_fma_f32 v64, v8, v4, v64                                 // 000000006DB4: D1CB0040 05020908
	v_fma_f32 v65, v9, v4, v65                                 // 000000006DBC: D1CB0041 05060909
	v_fma_f32 v66, v10, v4, v66                                // 000000006DC4: D1CB0042 050A090A
	v_fma_f32 v67, v11, v4, v67                                // 000000006DCC: D1CB0043 050E090B
	s_waitcnt vmcnt(7)                                         // 000000006DD4: BF8C0F77
	v_mul_f32_dpp v4, v24, v40 row_newbcast:0 row_mask:0xf bank_mask:0xf// 000000006DD8: 0A0850FA FF015018
	v_mfma_f32_16x16x32_fp8_fp8 v[8:11], a[72:73], a[32:33], 0 // 000000006DE0: D3F30008 1A024148
	buffer_load_dword v46, s[20:23], 0 offen lds               // 000000006DE8: E0511000 8005002E
	s_add_u32 m0, 0x300, s49                                   // 000000006DF0: 807C31FF 00000300
	v_mfma_f32_16x16x32_fp8_fp8 v[8:11], a[74:75], a[34:35], v[8:11]// 000000006DF8: D3F30008 1C22454A
	v_mfma_f32_16x16x32_fp8_fp8 v[8:11], a[76:77], a[36:37], v[8:11]// 000000006E00: D3F30008 1C22494C
	buffer_load_dword v47, s[20:23], 0 offen lds               // 000000006E08: E0511000 8005002F
	s_add_u32 m0, 0x400, s49                                   // 000000006E10: 807C31FF 00000400
	v_mfma_f32_16x16x32_fp8_fp8 v[8:11], a[78:79], a[38:39], v[8:11]// 000000006E18: D3F30008 1C224D4E
	v_fma_f32 v68, v12, v6, v68                                // 000000006E20: D1CB0044 05120D0C
	v_fma_f32 v69, v13, v6, v69                                // 000000006E28: D1CB0045 05160D0D
	v_fma_f32 v70, v14, v6, v70                                // 000000006E30: D1CB0046 051A0D0E
	v_fma_f32 v71, v15, v6, v71                                // 000000006E38: D1CB0047 051E0D0F
	v_mul_f32_dpp v6, v24, v41 row_newbcast:0 row_mask:0xf bank_mask:0xf// 000000006E40: 0A0C52FA FF015018
	v_mfma_f32_16x16x32_fp8_fp8 v[12:15], a[72:73], a[40:41], 0// 000000006E48: D3F3000C 1A025148
	buffer_load_dword v48, s[20:23], 0 offen lds               // 000000006E50: E0511000 80050030
	s_add_u32 m0, 0x500, s49                                   // 000000006E58: 807C31FF 00000500
	v_mfma_f32_16x16x32_fp8_fp8 v[12:15], a[74:75], a[42:43], v[12:15]// 000000006E60: D3F3000C 1C32554A
	v_mfma_f32_16x16x32_fp8_fp8 v[12:15], a[76:77], a[44:45], v[12:15]// 000000006E68: D3F3000C 1C32594C
	buffer_load_dword v49, s[20:23], 0 offen lds               // 000000006E70: E0511000 80050031
	s_add_u32 m0, 0x600, s49                                   // 000000006E78: 807C31FF 00000600
	v_mfma_f32_16x16x32_fp8_fp8 v[12:15], a[78:79], a[46:47], v[12:15]// 000000006E80: D3F3000C 1C325D4E
	v_fma_f32 v72, v8, v4, v72                                 // 000000006E88: D1CB0048 05220908
	v_fma_f32 v73, v9, v4, v73                                 // 000000006E90: D1CB0049 05260909
	v_fma_f32 v74, v10, v4, v74                                // 000000006E98: D1CB004A 052A090A
	v_fma_f32 v75, v11, v4, v75                                // 000000006EA0: D1CB004B 052E090B
	v_mul_f32_dpp v4, v24, v42 row_newbcast:0 row_mask:0xf bank_mask:0xf// 000000006EA8: 0A0854FA FF015018
	v_mfma_f32_16x16x32_fp8_fp8 v[8:11], a[72:73], a[48:49], 0 // 000000006EB0: D3F30008 1A026148
	buffer_load_dword v50, s[20:23], 0 offen lds               // 000000006EB8: E0511000 80050032
	s_add_u32 m0, 0x700, s49                                   // 000000006EC0: 807C31FF 00000700
	v_mfma_f32_16x16x32_fp8_fp8 v[8:11], a[74:75], a[50:51], v[8:11]// 000000006EC8: D3F30008 1C22654A
	v_mfma_f32_16x16x32_fp8_fp8 v[8:11], a[76:77], a[52:53], v[8:11]// 000000006ED0: D3F30008 1C22694C
	buffer_load_dword v51, s[20:23], 0 offen lds               // 000000006ED8: E0511000 80050033
	s_add_u32 m0, 0, s48                                       // 000000006EE0: 807C3080
	v_mfma_f32_16x16x32_fp8_fp8 v[8:11], a[78:79], a[54:55], v[8:11]// 000000006EE4: D3F30008 1C226D4E
	v_fma_f32 v76, v12, v6, v76                                // 000000006EEC: D1CB004C 05320D0C
	v_fma_f32 v77, v13, v6, v77                                // 000000006EF4: D1CB004D 05360D0D
	v_fma_f32 v78, v14, v6, v78                                // 000000006EFC: D1CB004E 053A0D0E
	v_fma_f32 v79, v15, v6, v79                                // 000000006F04: D1CB004F 053E0D0F
	v_mul_f32_dpp v6, v24, v43 row_newbcast:0 row_mask:0xf bank_mask:0xf// 000000006F0C: 0A0C56FA FF015018
	v_mfma_f32_16x16x32_fp8_fp8 v[12:15], a[72:73], a[56:57], 0// 000000006F14: D3F3000C 1A027148
	buffer_load_dword v36, v28, s[28:31], 0 offen              // 000000006F1C: E0501000 8007241C
	v_mfma_f32_16x16x32_fp8_fp8 v[12:15], a[74:75], a[58:59], v[12:15]// 000000006F24: D3F3000C 1C32754A
	s_add_u32 s60, 0x80, s80                                   // 000000006F2C: 803C50FF 00000080
	s_cmp_lt_u32 s60, s81                                      // 000000006F34: BF0A513C
	s_cselect_b32 s83, s83, 0                                  // 000000006F38: 85538053
	s_cselect_b32 s4, s4, 0                                    // 000000006F3C: 85048004
	v_mfma_f32_16x16x32_fp8_fp8 v[12:15], a[76:77], a[60:61], v[12:15]// 000000006F40: D3F3000C 1C32794C
	buffer_load_dword v37, v29, s[28:31], 0 offen              // 000000006F48: E0501000 8007251D
	s_add_u32 s32, s4, s32                                     // 000000006F50: 80202004
	s_addc_u32 s33, 0, s33                                     // 000000006F54: 82212180
	v_mfma_f32_16x16x32_fp8_fp8 v[12:15], a[78:79], a[62:63], v[12:15]// 000000006F58: D3F3000C 1C327D4E
	v_fma_f32 v80, v8, v4, v80                                 // 000000006F60: D1CB0050 05420908
	v_fma_f32 v81, v9, v4, v81                                 // 000000006F68: D1CB0051 05460909
	v_fma_f32 v82, v10, v4, v82                                // 000000006F70: D1CB0052 054A090A
	v_fma_f32 v83, v11, v4, v83                                // 000000006F78: D1CB0053 054E090B
	v_fma_f32 v84, v12, v6, v84                                // 000000006F80: D1CB0054 05520D0C
	v_fma_f32 v85, v13, v6, v85                                // 000000006F88: D1CB0055 05560D0D
	v_fma_f32 v86, v14, v6, v86                                // 000000006F90: D1CB0056 055A0D0E
	v_fma_f32 v87, v15, v6, v87                                // 000000006F98: D1CB0057 055E0D0F
	buffer_load_dword v38, v30, s[28:31], 0 offen              // 000000006FA0: E0501000 8007261E
	buffer_load_dword v39, v31, s[28:31], 0 offen              // 000000006FA8: E0501000 8007271F
	s_waitcnt vmcnt(12)                                        // 000000006FB0: BF8C0F7C
	v_mul_f32_dpp v4, v27, v40 row_newbcast:0 row_mask:0xf bank_mask:0xf// 000000006FB4: 0A0850FA FF01501B
	v_mfma_f32_16x16x32_fp8_fp8 v[8:11], a[80:81], a[32:33], 0 // 000000006FBC: D3F30008 1A024150
	buffer_load_dword v24, v22, s[32:35], 0 offen              // 000000006FC4: E0501000 80081816
	buffer_load_dwordx4 a[64:67], v52, s[24:27], 0 offen       // 000000006FCC: E05C1000 80864034
	v_mfma_f32_16x16x32_fp8_fp8 v[8:11], a[82:83], a[34:35], v[8:11]// 000000006FD4: D3F30008 1C224552
	v_mfma_f32_16x16x32_fp8_fp8 v[8:11], a[84:85], a[36:37], v[8:11]// 000000006FDC: D3F30008 1C224954
	ds_read_b128 a[0:3], v2                                    // 000000006FE4: DBFE0000 00000002
	ds_read_b128 a[4:7], v2 offset:64                          // 000000006FEC: DBFE0040 04000002
	v_mfma_f32_16x16x32_fp8_fp8 v[8:11], a[86:87], a[38:39], v[8:11]// 000000006FF4: D3F30008 1C224D56
	v_mfma_f32_16x16x32_fp8_fp8 v[12:15], a[88:89], a[32:33], 0// 000000006FFC: D3F3000C 1A024158
	buffer_load_dwordx4 a[68:71], v52, s[24:27], 0 offen offset:1024// 000000007004: E05C1400 80864434
	v_mfma_f32_16x16x32_fp8_fp8 v[12:15], a[90:91], a[34:35], v[12:15]// 00000000700C: D3F3000C 1C32455A
	v_mfma_f32_16x16x32_fp8_fp8 v[12:15], a[92:93], a[36:37], v[12:15]// 000000007014: D3F3000C 1C32495C
	ds_read_b128 a[8:11], v2 offset:512                        // 00000000701C: DBFE0200 08000002
	ds_read_b128 a[12:15], v2 offset:576                       // 000000007024: DBFE0240 0C000002
	v_mfma_f32_16x16x32_fp8_fp8 v[12:15], a[94:95], a[38:39], v[12:15]// 00000000702C: D3F3000C 1C324D5E
	v_fma_f32 v88, v8, v4, v88                                 // 000000007034: D1CB0058 05620908
	v_fma_f32 v89, v9, v4, v89                                 // 00000000703C: D1CB0059 05660909
	v_fma_f32 v90, v10, v4, v90                                // 000000007044: D1CB005A 056A090A
	v_fma_f32 v91, v11, v4, v91                                // 00000000704C: D1CB005B 056E090B
	v_mul_f32_dpp v6, v27, v41 row_newbcast:0 row_mask:0xf bank_mask:0xf// 000000007054: 0A0C52FA FF01501B
	v_mfma_f32_16x16x32_fp8_fp8 v[8:11], a[80:81], a[40:41], 0 // 00000000705C: D3F30008 1A025150
	buffer_load_dwordx4 a[72:75], v53, s[24:27], 0 offen       // 000000007064: E05C1000 80864835
	v_mfma_f32_16x16x32_fp8_fp8 v[8:11], a[82:83], a[42:43], v[8:11]// 00000000706C: D3F30008 1C225552
	v_mfma_f32_16x16x32_fp8_fp8 v[8:11], a[84:85], a[44:45], v[8:11]// 000000007074: D3F30008 1C225954
	ds_read_b128 a[16:19], v2 offset:1024                      // 00000000707C: DBFE0400 10000002
	ds_read_b128 a[20:23], v2 offset:1088                      // 000000007084: DBFE0440 14000002
	v_mfma_f32_16x16x32_fp8_fp8 v[8:11], a[86:87], a[46:47], v[8:11]// 00000000708C: D3F30008 1C225D56
	v_fma_f32 v104, v12, v4, v104                              // 000000007094: D1CB0068 05A2090C
	v_fma_f32 v105, v13, v4, v105                              // 00000000709C: D1CB0069 05A6090D
	v_fma_f32 v106, v14, v4, v106                              // 0000000070A4: D1CB006A 05AA090E
	v_fma_f32 v107, v15, v4, v107                              // 0000000070AC: D1CB006B 05AE090F
	v_mfma_f32_16x16x32_fp8_fp8 v[12:15], a[88:89], a[40:41], 0// 0000000070B4: D3F3000C 1A025158
	buffer_load_dwordx4 a[76:79], v53, s[24:27], 0 offen offset:1024// 0000000070BC: E05C1400 80864C35
	v_mfma_f32_16x16x32_fp8_fp8 v[12:15], a[90:91], a[42:43], v[12:15]// 0000000070C4: D3F3000C 1C32555A
	v_mfma_f32_16x16x32_fp8_fp8 v[12:15], a[92:93], a[44:45], v[12:15]// 0000000070CC: D3F3000C 1C32595C
	ds_read_b128 a[24:27], v2 offset:1536                      // 0000000070D4: DBFE0600 18000002
	ds_read_b128 a[28:31], v2 offset:1600                      // 0000000070DC: DBFE0640 1C000002
	v_mfma_f32_16x16x32_fp8_fp8 v[12:15], a[94:95], a[46:47], v[12:15]// 0000000070E4: D3F3000C 1C325D5E
	v_fma_f32 v92, v8, v6, v92                                 // 0000000070EC: D1CB005C 05720D08
	v_fma_f32 v93, v9, v6, v93                                 // 0000000070F4: D1CB005D 05760D09
	v_fma_f32 v94, v10, v6, v94                                // 0000000070FC: D1CB005E 057A0D0A
	v_fma_f32 v95, v11, v6, v95                                // 000000007104: D1CB005F 057E0D0B
	v_mul_f32_dpp v4, v27, v42 row_newbcast:0 row_mask:0xf bank_mask:0xf// 00000000710C: 0A0854FA FF01501B
	v_mfma_f32_16x16x32_fp8_fp8 v[8:11], a[80:81], a[48:49], 0 // 000000007114: D3F30008 1A026150
	v_mfma_f32_16x16x32_fp8_fp8 v[8:11], a[82:83], a[50:51], v[8:11]// 00000000711C: D3F30008 1C226552
	v_mfma_f32_16x16x32_fp8_fp8 v[8:11], a[84:85], a[52:53], v[8:11]// 000000007124: D3F30008 1C226954
	v_mfma_f32_16x16x32_fp8_fp8 v[8:11], a[86:87], a[54:55], v[8:11]// 00000000712C: D3F30008 1C226D56
	v_fma_f32 v108, v12, v6, v108                              // 000000007134: D1CB006C 05B20D0C
	v_fma_f32 v109, v13, v6, v109                              // 00000000713C: D1CB006D 05B60D0D
	v_fma_f32 v110, v14, v6, v110                              // 000000007144: D1CB006E 05BA0D0E
	v_fma_f32 v111, v15, v6, v111                              // 00000000714C: D1CB006F 05BE0D0F
	v_mfma_f32_16x16x32_fp8_fp8 v[12:15], a[88:89], a[48:49], 0// 000000007154: D3F3000C 1A026158
	v_mfma_f32_16x16x32_fp8_fp8 v[12:15], a[90:91], a[50:51], v[12:15]// 00000000715C: D3F3000C 1C32655A
	v_mfma_f32_16x16x32_fp8_fp8 v[12:15], a[92:93], a[52:53], v[12:15]// 000000007164: D3F3000C 1C32695C
	v_mfma_f32_16x16x32_fp8_fp8 v[12:15], a[94:95], a[54:55], v[12:15]// 00000000716C: D3F3000C 1C326D5E
	v_fma_f32 v96, v8, v4, v96                                 // 000000007174: D1CB0060 05820908
	v_fma_f32 v97, v9, v4, v97                                 // 00000000717C: D1CB0061 05860909
	v_fma_f32 v98, v10, v4, v98                                // 000000007184: D1CB0062 058A090A
	v_fma_f32 v99, v11, v4, v99                                // 00000000718C: D1CB0063 058E090B
	v_mul_f32_dpp v6, v27, v43 row_newbcast:0 row_mask:0xf bank_mask:0xf// 000000007194: 0A0C56FA FF01501B
	v_mfma_f32_16x16x32_fp8_fp8 v[8:11], a[80:81], a[56:57], 0 // 00000000719C: D3F30008 1A027150
	v_mfma_f32_16x16x32_fp8_fp8 v[8:11], a[82:83], a[58:59], v[8:11]// 0000000071A4: D3F30008 1C227552
	v_mfma_f32_16x16x32_fp8_fp8 v[8:11], a[84:85], a[60:61], v[8:11]// 0000000071AC: D3F30008 1C227954
	s_add_u32 s60, 0x180, s80                                  // 0000000071B4: 803C50FF 00000180
	s_cmp_lt_u32 s60, s81                                      // 0000000071BC: BF0A513C
	s_cselect_b32 s57, s57, 0                                  // 0000000071C0: 85398039
	s_cselect_b32 s3, s3, 0                                    // 0000000071C4: 85038003
	v_mfma_f32_16x16x32_fp8_fp8 v[8:11], a[86:87], a[62:63], v[8:11]// 0000000071C8: D3F30008 1C227D56
	s_add_u32 s60, 0x100, s80                                  // 0000000071D0: 803C50FF 00000100
	s_cmp_lt_u32 s60, s81                                      // 0000000071D8: BF0A513C
	s_cselect_b32 s58, s58, 0                                  // 0000000071DC: 853A803A
	v_fma_f32 v112, v12, v4, v112                              // 0000000071E0: D1CB0070 05C2090C
	v_fma_f32 v113, v13, v4, v113                              // 0000000071E8: D1CB0071 05C6090D
	v_fma_f32 v114, v14, v4, v114                              // 0000000071F0: D1CB0072 05CA090E
	v_fma_f32 v115, v15, v4, v115                              // 0000000071F8: D1CB0073 05CE090F
	v_mfma_f32_16x16x32_fp8_fp8 v[12:15], a[88:89], a[56:57], 0// 000000007200: D3F3000C 1A027158
	s_add_u32 s24, s58, s24                                    // 000000007208: 8018183A
	s_addc_u32 s25, 0, s25                                     // 00000000720C: 82191980
	v_mfma_f32_16x16x32_fp8_fp8 v[12:15], a[90:91], a[58:59], v[12:15]// 000000007210: D3F3000C 1C32755A
	s_add_u32 s20, s57, s20                                    // 000000007218: 80141439
	s_addc_u32 s21, 0, s21                                     // 00000000721C: 82151580
	s_add_u32 s28, s3, s28                                     // 000000007220: 801C1C03
	s_addc_u32 s29, 0, s29                                     // 000000007224: 821D1D80
	v_mfma_f32_16x16x32_fp8_fp8 v[12:15], a[92:93], a[60:61], v[12:15]// 000000007228: D3F3000C 1C32795C
	s_add_u32 s84, s83, s84                                    // 000000007230: 80545453
	s_addc_u32 s85, 0, s85                                     // 000000007234: 82555580
	v_mfma_f32_16x16x32_fp8_fp8 v[12:15], a[94:95], a[62:63], v[12:15]// 000000007238: D3F3000C 1C327D5E
	v_fma_f32 v100, v8, v6, v100                               // 000000007240: D1CB0064 05920D08
	v_fma_f32 v101, v9, v6, v101                               // 000000007248: D1CB0065 05960D09
	v_fma_f32 v102, v10, v6, v102                              // 000000007250: D1CB0066 059A0D0A
	v_fma_f32 v103, v11, v6, v103                              // 000000007258: D1CB0067 059E0D0B
	v_fma_f32 v116, v12, v6, v116                              // 000000007260: D1CB0074 05D20D0C
	v_fma_f32 v117, v13, v6, v117                              // 000000007268: D1CB0075 05D60D0D
	v_fma_f32 v118, v14, v6, v118                              // 000000007270: D1CB0076 05DA0D0E
	v_fma_f32 v119, v15, v6, v119                              // 000000007278: D1CB0077 05DE0D0F
	s_addk_i32 s80, 0x80                                       // 000000007280: B7500080
	s_cmp_lt_i32 s80, s81                                      // 000000007284: BF045150
	s_cbranch_scc0 label_1227                                  // 000000007288: BF840001
	s_branch label_0F1A                                        // 00000000728C: BF82FCF3

0000000000007290 <label_1227>:
	s_cmp_eq_u32 s88, 0                                        // 000000007290: BF068058
	s_cbranch_scc0 label_17A8                                  // 000000007294: BF84057F
	s_cmp_eq_u32 s89, 0                                        // 000000007298: BF068059
	s_cbranch_scc1 label_1370                                  // 00000000729C: BF850145
	v_mov_b32_e32 v8, v1                                       // 0000000072A0: 7E100301
	v_mov_b32_e32 v9, v1                                       // 0000000072A4: 7E120301
	s_mov_b32 s60, s6                                          // 0000000072A8: BEBC0006
	s_mov_b32 s61, s6                                          // 0000000072AC: BEBD0006
	v_pk_mul_f32 v[4:5], v[56:57], v[56:57]                    // 0000000072B0: D3B14004 18027138
	v_pk_mul_f32 v[6:7], v[58:59], v[58:59]                    // 0000000072B8: D3B14006 1802753A
	v_pk_fma_f32 v[4:5], v[4:5], s[78:79], v[8:9]              // 0000000072C0: D3B04004 1C209D04
	v_pk_fma_f32 v[6:7], v[6:7], s[78:79], v[8:9]              // 0000000072C8: D3B04006 1C209D06
	v_pk_mul_f32 v[4:5], v[4:5], v[56:57]                      // 0000000072D0: D3B14004 18027104
	v_pk_mul_f32 v[6:7], v[6:7], v[58:59]                      // 0000000072D8: D3B14006 18027506
	v_pk_mul_f32 v[4:5], v[4:5], s[60:61]                      // 0000000072E0: D3B14004 18007904
	v_pk_mul_f32 v[6:7], v[6:7], s[60:61]                      // 0000000072E8: D3B14006 18007906
	v_exp_f32_e32 v4, v4                                       // 0000000072F0: 7E084104
	v_exp_f32_e32 v5, v5                                       // 0000000072F4: 7E0A4105
	v_exp_f32_e32 v6, v6                                       // 0000000072F8: 7E0C4106
	v_exp_f32_e32 v7, v7                                       // 0000000072FC: 7E0E4107
	v_add_f32_e64 v4, v4, 1.0                                  // 000000007300: D1010004 0001E504
	v_add_f32_e64 v5, v5, 1.0                                  // 000000007308: D1010005 0001E505
	v_add_f32_e64 v6, v6, 1.0                                  // 000000007310: D1010006 0001E506
	v_add_f32_e64 v7, v7, 1.0                                  // 000000007318: D1010007 0001E507
	v_rcp_f32_e32 v4, v4                                       // 000000007320: 7E084504
	v_rcp_f32_e32 v5, v5                                       // 000000007324: 7E0A4505
	v_rcp_f32_e32 v6, v6                                       // 000000007328: 7E0C4506
	v_rcp_f32_e32 v7, v7                                       // 00000000732C: 7E0E4507
	v_mul_f32_e32 v56, v56, v4                                 // 000000007330: 0A700938
	v_mul_f32_e32 v57, v57, v5                                 // 000000007334: 0A720B39
	v_mul_f32_e32 v58, v58, v6                                 // 000000007338: 0A740D3A
	v_mul_f32_e32 v59, v59, v7                                 // 00000000733C: 0A760F3B
	v_mul_f32_e32 v56, v56, v88                                // 000000007340: 0A70B138
	v_mul_f32_e32 v57, v57, v89                                // 000000007344: 0A72B339
	v_mul_f32_e32 v58, v58, v90                                // 000000007348: 0A74B53A
	v_mul_f32_e32 v59, v59, v91                                // 00000000734C: 0A76B73B
	v_pk_mul_f32 v[4:5], v[60:61], v[60:61]                    // 000000007350: D3B14004 1802793C
	v_pk_mul_f32 v[6:7], v[62:63], v[62:63]                    // 000000007358: D3B14006 18027D3E
	v_pk_fma_f32 v[4:5], v[4:5], s[78:79], v[8:9]              // 000000007360: D3B04004 1C209D04
	v_pk_fma_f32 v[6:7], v[6:7], s[78:79], v[8:9]              // 000000007368: D3B04006 1C209D06
	v_pk_mul_f32 v[4:5], v[4:5], v[60:61]                      // 000000007370: D3B14004 18027904
	v_pk_mul_f32 v[6:7], v[6:7], v[62:63]                      // 000000007378: D3B14006 18027D06
	v_pk_mul_f32 v[4:5], v[4:5], s[60:61]                      // 000000007380: D3B14004 18007904
	v_pk_mul_f32 v[6:7], v[6:7], s[60:61]                      // 000000007388: D3B14006 18007906
	v_exp_f32_e32 v4, v4                                       // 000000007390: 7E084104
	v_exp_f32_e32 v5, v5                                       // 000000007394: 7E0A4105
	v_exp_f32_e32 v6, v6                                       // 000000007398: 7E0C4106
	v_exp_f32_e32 v7, v7                                       // 00000000739C: 7E0E4107
	v_add_f32_e64 v4, v4, 1.0                                  // 0000000073A0: D1010004 0001E504
	v_add_f32_e64 v5, v5, 1.0                                  // 0000000073A8: D1010005 0001E505
	v_add_f32_e64 v6, v6, 1.0                                  // 0000000073B0: D1010006 0001E506
	v_add_f32_e64 v7, v7, 1.0                                  // 0000000073B8: D1010007 0001E507
	v_rcp_f32_e32 v4, v4                                       // 0000000073C0: 7E084504
	v_rcp_f32_e32 v5, v5                                       // 0000000073C4: 7E0A4505
	v_rcp_f32_e32 v6, v6                                       // 0000000073C8: 7E0C4506
	v_rcp_f32_e32 v7, v7                                       // 0000000073CC: 7E0E4507
	v_mul_f32_e32 v60, v60, v4                                 // 0000000073D0: 0A78093C
	v_mul_f32_e32 v61, v61, v5                                 // 0000000073D4: 0A7A0B3D
	v_mul_f32_e32 v62, v62, v6                                 // 0000000073D8: 0A7C0D3E
	v_mul_f32_e32 v63, v63, v7                                 // 0000000073DC: 0A7E0F3F
	v_mul_f32_e32 v60, v60, v92                                // 0000000073E0: 0A78B93C
	v_mul_f32_e32 v61, v61, v93                                // 0000000073E4: 0A7ABB3D
	v_mul_f32_e32 v62, v62, v94                                // 0000000073E8: 0A7CBD3E
	v_mul_f32_e32 v63, v63, v95                                // 0000000073EC: 0A7EBF3F
	v_pk_mul_f32 v[4:5], v[64:65], v[64:65]                    // 0000000073F0: D3B14004 18028140
	v_pk_mul_f32 v[6:7], v[66:67], v[66:67]                    // 0000000073F8: D3B14006 18028542
	v_pk_fma_f32 v[4:5], v[4:5], s[78:79], v[8:9]              // 000000007400: D3B04004 1C209D04
	v_pk_fma_f32 v[6:7], v[6:7], s[78:79], v[8:9]              // 000000007408: D3B04006 1C209D06
	v_pk_mul_f32 v[4:5], v[4:5], v[64:65]                      // 000000007410: D3B14004 18028104
	v_pk_mul_f32 v[6:7], v[6:7], v[66:67]                      // 000000007418: D3B14006 18028506
	v_pk_mul_f32 v[4:5], v[4:5], s[60:61]                      // 000000007420: D3B14004 18007904
	v_pk_mul_f32 v[6:7], v[6:7], s[60:61]                      // 000000007428: D3B14006 18007906
	v_exp_f32_e32 v4, v4                                       // 000000007430: 7E084104
	v_exp_f32_e32 v5, v5                                       // 000000007434: 7E0A4105
	v_exp_f32_e32 v6, v6                                       // 000000007438: 7E0C4106
	v_exp_f32_e32 v7, v7                                       // 00000000743C: 7E0E4107
	v_add_f32_e64 v4, v4, 1.0                                  // 000000007440: D1010004 0001E504
	v_add_f32_e64 v5, v5, 1.0                                  // 000000007448: D1010005 0001E505
	v_add_f32_e64 v6, v6, 1.0                                  // 000000007450: D1010006 0001E506
	v_add_f32_e64 v7, v7, 1.0                                  // 000000007458: D1010007 0001E507
	v_rcp_f32_e32 v4, v4                                       // 000000007460: 7E084504
	v_rcp_f32_e32 v5, v5                                       // 000000007464: 7E0A4505
	v_rcp_f32_e32 v6, v6                                       // 000000007468: 7E0C4506
	v_rcp_f32_e32 v7, v7                                       // 00000000746C: 7E0E4507
	v_mul_f32_e32 v64, v64, v4                                 // 000000007470: 0A800940
	v_mul_f32_e32 v65, v65, v5                                 // 000000007474: 0A820B41
	v_mul_f32_e32 v66, v66, v6                                 // 000000007478: 0A840D42
	v_mul_f32_e32 v67, v67, v7                                 // 00000000747C: 0A860F43
	v_mul_f32_e32 v64, v64, v96                                // 000000007480: 0A80C140
	v_mul_f32_e32 v65, v65, v97                                // 000000007484: 0A82C341
	v_mul_f32_e32 v66, v66, v98                                // 000000007488: 0A84C542
	v_mul_f32_e32 v67, v67, v99                                // 00000000748C: 0A86C743
	v_pk_mul_f32 v[4:5], v[68:69], v[68:69]                    // 000000007490: D3B14004 18028944
	v_pk_mul_f32 v[6:7], v[70:71], v[70:71]                    // 000000007498: D3B14006 18028D46
	v_pk_fma_f32 v[4:5], v[4:5], s[78:79], v[8:9]              // 0000000074A0: D3B04004 1C209D04
	v_pk_fma_f32 v[6:7], v[6:7], s[78:79], v[8:9]              // 0000000074A8: D3B04006 1C209D06
	v_pk_mul_f32 v[4:5], v[4:5], v[68:69]                      // 0000000074B0: D3B14004 18028904
	v_pk_mul_f32 v[6:7], v[6:7], v[70:71]                      // 0000000074B8: D3B14006 18028D06
	v_pk_mul_f32 v[4:5], v[4:5], s[60:61]                      // 0000000074C0: D3B14004 18007904
	v_pk_mul_f32 v[6:7], v[6:7], s[60:61]                      // 0000000074C8: D3B14006 18007906
	v_exp_f32_e32 v4, v4                                       // 0000000074D0: 7E084104
	v_exp_f32_e32 v5, v5                                       // 0000000074D4: 7E0A4105
	v_exp_f32_e32 v6, v6                                       // 0000000074D8: 7E0C4106
	v_exp_f32_e32 v7, v7                                       // 0000000074DC: 7E0E4107
	v_add_f32_e64 v4, v4, 1.0                                  // 0000000074E0: D1010004 0001E504
	v_add_f32_e64 v5, v5, 1.0                                  // 0000000074E8: D1010005 0001E505
	v_add_f32_e64 v6, v6, 1.0                                  // 0000000074F0: D1010006 0001E506
	v_add_f32_e64 v7, v7, 1.0                                  // 0000000074F8: D1010007 0001E507
	v_rcp_f32_e32 v4, v4                                       // 000000007500: 7E084504
	v_rcp_f32_e32 v5, v5                                       // 000000007504: 7E0A4505
	v_rcp_f32_e32 v6, v6                                       // 000000007508: 7E0C4506
	v_rcp_f32_e32 v7, v7                                       // 00000000750C: 7E0E4507
	v_mul_f32_e32 v68, v68, v4                                 // 000000007510: 0A880944
	v_mul_f32_e32 v69, v69, v5                                 // 000000007514: 0A8A0B45
	v_mul_f32_e32 v70, v70, v6                                 // 000000007518: 0A8C0D46
	v_mul_f32_e32 v71, v71, v7                                 // 00000000751C: 0A8E0F47
	v_mul_f32_e32 v68, v68, v100                               // 000000007520: 0A88C944
	v_mul_f32_e32 v69, v69, v101                               // 000000007524: 0A8ACB45
	v_mul_f32_e32 v70, v70, v102                               // 000000007528: 0A8CCD46
	v_mul_f32_e32 v71, v71, v103                               // 00000000752C: 0A8ECF47
	v_pk_mul_f32 v[4:5], v[72:73], v[72:73]                    // 000000007530: D3B14004 18029148
	v_pk_mul_f32 v[6:7], v[74:75], v[74:75]                    // 000000007538: D3B14006 1802954A
	v_pk_fma_f32 v[4:5], v[4:5], s[78:79], v[8:9]              // 000000007540: D3B04004 1C209D04
	v_pk_fma_f32 v[6:7], v[6:7], s[78:79], v[8:9]              // 000000007548: D3B04006 1C209D06
	v_pk_mul_f32 v[4:5], v[4:5], v[72:73]                      // 000000007550: D3B14004 18029104
	v_pk_mul_f32 v[6:7], v[6:7], v[74:75]                      // 000000007558: D3B14006 18029506
	v_pk_mul_f32 v[4:5], v[4:5], s[60:61]                      // 000000007560: D3B14004 18007904
	v_pk_mul_f32 v[6:7], v[6:7], s[60:61]                      // 000000007568: D3B14006 18007906
	v_exp_f32_e32 v4, v4                                       // 000000007570: 7E084104
	v_exp_f32_e32 v5, v5                                       // 000000007574: 7E0A4105
	v_exp_f32_e32 v6, v6                                       // 000000007578: 7E0C4106
	v_exp_f32_e32 v7, v7                                       // 00000000757C: 7E0E4107
	v_add_f32_e64 v4, v4, 1.0                                  // 000000007580: D1010004 0001E504
	v_add_f32_e64 v5, v5, 1.0                                  // 000000007588: D1010005 0001E505
	v_add_f32_e64 v6, v6, 1.0                                  // 000000007590: D1010006 0001E506
	v_add_f32_e64 v7, v7, 1.0                                  // 000000007598: D1010007 0001E507
	v_rcp_f32_e32 v4, v4                                       // 0000000075A0: 7E084504
	v_rcp_f32_e32 v5, v5                                       // 0000000075A4: 7E0A4505
	v_rcp_f32_e32 v6, v6                                       // 0000000075A8: 7E0C4506
	v_rcp_f32_e32 v7, v7                                       // 0000000075AC: 7E0E4507
	v_mul_f32_e32 v72, v72, v4                                 // 0000000075B0: 0A900948
	v_mul_f32_e32 v73, v73, v5                                 // 0000000075B4: 0A920B49
	v_mul_f32_e32 v74, v74, v6                                 // 0000000075B8: 0A940D4A
	v_mul_f32_e32 v75, v75, v7                                 // 0000000075BC: 0A960F4B
	v_mul_f32_e32 v72, v72, v104                               // 0000000075C0: 0A90D148
	v_mul_f32_e32 v73, v73, v105                               // 0000000075C4: 0A92D349
	v_mul_f32_e32 v74, v74, v106                               // 0000000075C8: 0A94D54A
	v_mul_f32_e32 v75, v75, v107                               // 0000000075CC: 0A96D74B
	v_pk_mul_f32 v[4:5], v[76:77], v[76:77]                    // 0000000075D0: D3B14004 1802994C
	v_pk_mul_f32 v[6:7], v[78:79], v[78:79]                    // 0000000075D8: D3B14006 18029D4E
	v_pk_fma_f32 v[4:5], v[4:5], s[78:79], v[8:9]              // 0000000075E0: D3B04004 1C209D04
	v_pk_fma_f32 v[6:7], v[6:7], s[78:79], v[8:9]              // 0000000075E8: D3B04006 1C209D06
	v_pk_mul_f32 v[4:5], v[4:5], v[76:77]                      // 0000000075F0: D3B14004 18029904
	v_pk_mul_f32 v[6:7], v[6:7], v[78:79]                      // 0000000075F8: D3B14006 18029D06
	v_pk_mul_f32 v[4:5], v[4:5], s[60:61]                      // 000000007600: D3B14004 18007904
	v_pk_mul_f32 v[6:7], v[6:7], s[60:61]                      // 000000007608: D3B14006 18007906
	v_exp_f32_e32 v4, v4                                       // 000000007610: 7E084104
	v_exp_f32_e32 v5, v5                                       // 000000007614: 7E0A4105
	v_exp_f32_e32 v6, v6                                       // 000000007618: 7E0C4106
	v_exp_f32_e32 v7, v7                                       // 00000000761C: 7E0E4107
	v_add_f32_e64 v4, v4, 1.0                                  // 000000007620: D1010004 0001E504
	v_add_f32_e64 v5, v5, 1.0                                  // 000000007628: D1010005 0001E505
	v_add_f32_e64 v6, v6, 1.0                                  // 000000007630: D1010006 0001E506
	v_add_f32_e64 v7, v7, 1.0                                  // 000000007638: D1010007 0001E507
	v_rcp_f32_e32 v4, v4                                       // 000000007640: 7E084504
	v_rcp_f32_e32 v5, v5                                       // 000000007644: 7E0A4505
	v_rcp_f32_e32 v6, v6                                       // 000000007648: 7E0C4506
	v_rcp_f32_e32 v7, v7                                       // 00000000764C: 7E0E4507
	v_mul_f32_e32 v76, v76, v4                                 // 000000007650: 0A98094C
	v_mul_f32_e32 v77, v77, v5                                 // 000000007654: 0A9A0B4D
	v_mul_f32_e32 v78, v78, v6                                 // 000000007658: 0A9C0D4E
	v_mul_f32_e32 v79, v79, v7                                 // 00000000765C: 0A9E0F4F
	v_mul_f32_e32 v76, v76, v108                               // 000000007660: 0A98D94C
	v_mul_f32_e32 v77, v77, v109                               // 000000007664: 0A9ADB4D
	v_mul_f32_e32 v78, v78, v110                               // 000000007668: 0A9CDD4E
	v_mul_f32_e32 v79, v79, v111                               // 00000000766C: 0A9EDF4F
	v_pk_mul_f32 v[4:5], v[80:81], v[80:81]                    // 000000007670: D3B14004 1802A150
	v_pk_mul_f32 v[6:7], v[82:83], v[82:83]                    // 000000007678: D3B14006 1802A552
	v_pk_fma_f32 v[4:5], v[4:5], s[78:79], v[8:9]              // 000000007680: D3B04004 1C209D04
	v_pk_fma_f32 v[6:7], v[6:7], s[78:79], v[8:9]              // 000000007688: D3B04006 1C209D06
	v_pk_mul_f32 v[4:5], v[4:5], v[80:81]                      // 000000007690: D3B14004 1802A104
	v_pk_mul_f32 v[6:7], v[6:7], v[82:83]                      // 000000007698: D3B14006 1802A506
	v_pk_mul_f32 v[4:5], v[4:5], s[60:61]                      // 0000000076A0: D3B14004 18007904
	v_pk_mul_f32 v[6:7], v[6:7], s[60:61]                      // 0000000076A8: D3B14006 18007906
	v_exp_f32_e32 v4, v4                                       // 0000000076B0: 7E084104
	v_exp_f32_e32 v5, v5                                       // 0000000076B4: 7E0A4105
	v_exp_f32_e32 v6, v6                                       // 0000000076B8: 7E0C4106
	v_exp_f32_e32 v7, v7                                       // 0000000076BC: 7E0E4107
	v_add_f32_e64 v4, v4, 1.0                                  // 0000000076C0: D1010004 0001E504
	v_add_f32_e64 v5, v5, 1.0                                  // 0000000076C8: D1010005 0001E505
	v_add_f32_e64 v6, v6, 1.0                                  // 0000000076D0: D1010006 0001E506
	v_add_f32_e64 v7, v7, 1.0                                  // 0000000076D8: D1010007 0001E507
	v_rcp_f32_e32 v4, v4                                       // 0000000076E0: 7E084504
	v_rcp_f32_e32 v5, v5                                       // 0000000076E4: 7E0A4505
	v_rcp_f32_e32 v6, v6                                       // 0000000076E8: 7E0C4506
	v_rcp_f32_e32 v7, v7                                       // 0000000076EC: 7E0E4507
	v_mul_f32_e32 v80, v80, v4                                 // 0000000076F0: 0AA00950
	v_mul_f32_e32 v81, v81, v5                                 // 0000000076F4: 0AA20B51
	v_mul_f32_e32 v82, v82, v6                                 // 0000000076F8: 0AA40D52
	v_mul_f32_e32 v83, v83, v7                                 // 0000000076FC: 0AA60F53
	v_mul_f32_e32 v80, v80, v112                               // 000000007700: 0AA0E150
	v_mul_f32_e32 v81, v81, v113                               // 000000007704: 0AA2E351
	v_mul_f32_e32 v82, v82, v114                               // 000000007708: 0AA4E552
	v_mul_f32_e32 v83, v83, v115                               // 00000000770C: 0AA6E753
	v_pk_mul_f32 v[4:5], v[84:85], v[84:85]                    // 000000007710: D3B14004 1802A954
	v_pk_mul_f32 v[6:7], v[86:87], v[86:87]                    // 000000007718: D3B14006 1802AD56
	v_pk_fma_f32 v[4:5], v[4:5], s[78:79], v[8:9]              // 000000007720: D3B04004 1C209D04
	v_pk_fma_f32 v[6:7], v[6:7], s[78:79], v[8:9]              // 000000007728: D3B04006 1C209D06
	v_pk_mul_f32 v[4:5], v[4:5], v[84:85]                      // 000000007730: D3B14004 1802A904
	v_pk_mul_f32 v[6:7], v[6:7], v[86:87]                      // 000000007738: D3B14006 1802AD06
	v_pk_mul_f32 v[4:5], v[4:5], s[60:61]                      // 000000007740: D3B14004 18007904
	v_pk_mul_f32 v[6:7], v[6:7], s[60:61]                      // 000000007748: D3B14006 18007906
	v_exp_f32_e32 v4, v4                                       // 000000007750: 7E084104
	v_exp_f32_e32 v5, v5                                       // 000000007754: 7E0A4105
	v_exp_f32_e32 v6, v6                                       // 000000007758: 7E0C4106
	v_exp_f32_e32 v7, v7                                       // 00000000775C: 7E0E4107
	v_add_f32_e64 v4, v4, 1.0                                  // 000000007760: D1010004 0001E504
	v_add_f32_e64 v5, v5, 1.0                                  // 000000007768: D1010005 0001E505
	v_add_f32_e64 v6, v6, 1.0                                  // 000000007770: D1010006 0001E506
	v_add_f32_e64 v7, v7, 1.0                                  // 000000007778: D1010007 0001E507
	v_rcp_f32_e32 v4, v4                                       // 000000007780: 7E084504
	v_rcp_f32_e32 v5, v5                                       // 000000007784: 7E0A4505
	v_rcp_f32_e32 v6, v6                                       // 000000007788: 7E0C4506
	v_rcp_f32_e32 v7, v7                                       // 00000000778C: 7E0E4507
	v_mul_f32_e32 v84, v84, v4                                 // 000000007790: 0AA80954
	v_mul_f32_e32 v85, v85, v5                                 // 000000007794: 0AAA0B55
	v_mul_f32_e32 v86, v86, v6                                 // 000000007798: 0AAC0D56
	v_mul_f32_e32 v87, v87, v7                                 // 00000000779C: 0AAE0F57
	v_mul_f32_e32 v84, v84, v116                               // 0000000077A0: 0AA8E954
	v_mul_f32_e32 v85, v85, v117                               // 0000000077A4: 0AAAEB55
	v_mul_f32_e32 v86, v86, v118                               // 0000000077A8: 0AACED56
	v_mul_f32_e32 v87, v87, v119                               // 0000000077AC: 0AAEEF57
	s_branch label_1470                                        // 0000000077B0: BF820100

00000000000077b4 <label_1370>:
	v_mul_f32_e64 v4, -v56, s6                                 // 0000000077B4: D1050004 20000D38
	v_mul_f32_e64 v5, -v57, s6                                 // 0000000077BC: D1050005 20000D39
	v_mul_f32_e64 v6, -v58, s6                                 // 0000000077C4: D1050006 20000D3A
	v_mul_f32_e64 v7, -v59, s6                                 // 0000000077CC: D1050007 20000D3B
	v_exp_f32_e32 v4, v4                                       // 0000000077D4: 7E084104
	v_exp_f32_e32 v5, v5                                       // 0000000077D8: 7E0A4105
	v_exp_f32_e32 v6, v6                                       // 0000000077DC: 7E0C4106
	v_exp_f32_e32 v7, v7                                       // 0000000077E0: 7E0E4107
	v_add_f32_e64 v4, v4, 1.0                                  // 0000000077E4: D1010004 0001E504
	v_add_f32_e64 v5, v5, 1.0                                  // 0000000077EC: D1010005 0001E505
	v_add_f32_e64 v6, v6, 1.0                                  // 0000000077F4: D1010006 0001E506
	v_add_f32_e64 v7, v7, 1.0                                  // 0000000077FC: D1010007 0001E507
	v_rcp_f32_e32 v4, v4                                       // 000000007804: 7E084504
	v_rcp_f32_e32 v5, v5                                       // 000000007808: 7E0A4505
	v_rcp_f32_e32 v6, v6                                       // 00000000780C: 7E0C4506
	v_rcp_f32_e32 v7, v7                                       // 000000007810: 7E0E4507
	v_mul_f32_e32 v56, v56, v4                                 // 000000007814: 0A700938
	v_mul_f32_e32 v57, v57, v5                                 // 000000007818: 0A720B39
	v_mul_f32_e32 v58, v58, v6                                 // 00000000781C: 0A740D3A
	v_mul_f32_e32 v59, v59, v7                                 // 000000007820: 0A760F3B
	v_mul_f32_e32 v56, v56, v88                                // 000000007824: 0A70B138
	v_mul_f32_e32 v57, v57, v89                                // 000000007828: 0A72B339
	v_mul_f32_e32 v58, v58, v90                                // 00000000782C: 0A74B53A
	v_mul_f32_e32 v59, v59, v91                                // 000000007830: 0A76B73B
	v_mul_f32_e64 v4, -v60, s6                                 // 000000007834: D1050004 20000D3C
	v_mul_f32_e64 v5, -v61, s6                                 // 00000000783C: D1050005 20000D3D
	v_mul_f32_e64 v6, -v62, s6                                 // 000000007844: D1050006 20000D3E
	v_mul_f32_e64 v7, -v63, s6                                 // 00000000784C: D1050007 20000D3F
	v_exp_f32_e32 v4, v4                                       // 000000007854: 7E084104
	v_exp_f32_e32 v5, v5                                       // 000000007858: 7E0A4105
	v_exp_f32_e32 v6, v6                                       // 00000000785C: 7E0C4106
	v_exp_f32_e32 v7, v7                                       // 000000007860: 7E0E4107
	v_add_f32_e64 v4, v4, 1.0                                  // 000000007864: D1010004 0001E504
	v_add_f32_e64 v5, v5, 1.0                                  // 00000000786C: D1010005 0001E505
	v_add_f32_e64 v6, v6, 1.0                                  // 000000007874: D1010006 0001E506
	v_add_f32_e64 v7, v7, 1.0                                  // 00000000787C: D1010007 0001E507
	v_rcp_f32_e32 v4, v4                                       // 000000007884: 7E084504
	v_rcp_f32_e32 v5, v5                                       // 000000007888: 7E0A4505
	v_rcp_f32_e32 v6, v6                                       // 00000000788C: 7E0C4506
	v_rcp_f32_e32 v7, v7                                       // 000000007890: 7E0E4507
	v_mul_f32_e32 v60, v60, v4                                 // 000000007894: 0A78093C
	v_mul_f32_e32 v61, v61, v5                                 // 000000007898: 0A7A0B3D
	v_mul_f32_e32 v62, v62, v6                                 // 00000000789C: 0A7C0D3E
	v_mul_f32_e32 v63, v63, v7                                 // 0000000078A0: 0A7E0F3F
	v_mul_f32_e32 v60, v60, v92                                // 0000000078A4: 0A78B93C
	v_mul_f32_e32 v61, v61, v93                                // 0000000078A8: 0A7ABB3D
	v_mul_f32_e32 v62, v62, v94                                // 0000000078AC: 0A7CBD3E
	v_mul_f32_e32 v63, v63, v95                                // 0000000078B0: 0A7EBF3F
	v_mul_f32_e64 v4, -v64, s6                                 // 0000000078B4: D1050004 20000D40
	v_mul_f32_e64 v5, -v65, s6                                 // 0000000078BC: D1050005 20000D41
	v_mul_f32_e64 v6, -v66, s6                                 // 0000000078C4: D1050006 20000D42
	v_mul_f32_e64 v7, -v67, s6                                 // 0000000078CC: D1050007 20000D43
	v_exp_f32_e32 v4, v4                                       // 0000000078D4: 7E084104
	v_exp_f32_e32 v5, v5                                       // 0000000078D8: 7E0A4105
	v_exp_f32_e32 v6, v6                                       // 0000000078DC: 7E0C4106
	v_exp_f32_e32 v7, v7                                       // 0000000078E0: 7E0E4107
	v_add_f32_e64 v4, v4, 1.0                                  // 0000000078E4: D1010004 0001E504
	v_add_f32_e64 v5, v5, 1.0                                  // 0000000078EC: D1010005 0001E505
	v_add_f32_e64 v6, v6, 1.0                                  // 0000000078F4: D1010006 0001E506
	v_add_f32_e64 v7, v7, 1.0                                  // 0000000078FC: D1010007 0001E507
	v_rcp_f32_e32 v4, v4                                       // 000000007904: 7E084504
	v_rcp_f32_e32 v5, v5                                       // 000000007908: 7E0A4505
	v_rcp_f32_e32 v6, v6                                       // 00000000790C: 7E0C4506
	v_rcp_f32_e32 v7, v7                                       // 000000007910: 7E0E4507
	v_mul_f32_e32 v64, v64, v4                                 // 000000007914: 0A800940
	v_mul_f32_e32 v65, v65, v5                                 // 000000007918: 0A820B41
	v_mul_f32_e32 v66, v66, v6                                 // 00000000791C: 0A840D42
	v_mul_f32_e32 v67, v67, v7                                 // 000000007920: 0A860F43
	v_mul_f32_e32 v64, v64, v96                                // 000000007924: 0A80C140
	v_mul_f32_e32 v65, v65, v97                                // 000000007928: 0A82C341
	v_mul_f32_e32 v66, v66, v98                                // 00000000792C: 0A84C542
	v_mul_f32_e32 v67, v67, v99                                // 000000007930: 0A86C743
	v_mul_f32_e64 v4, -v68, s6                                 // 000000007934: D1050004 20000D44
	v_mul_f32_e64 v5, -v69, s6                                 // 00000000793C: D1050005 20000D45
	v_mul_f32_e64 v6, -v70, s6                                 // 000000007944: D1050006 20000D46
	v_mul_f32_e64 v7, -v71, s6                                 // 00000000794C: D1050007 20000D47
	v_exp_f32_e32 v4, v4                                       // 000000007954: 7E084104
	v_exp_f32_e32 v5, v5                                       // 000000007958: 7E0A4105
	v_exp_f32_e32 v6, v6                                       // 00000000795C: 7E0C4106
	v_exp_f32_e32 v7, v7                                       // 000000007960: 7E0E4107
	v_add_f32_e64 v4, v4, 1.0                                  // 000000007964: D1010004 0001E504
	v_add_f32_e64 v5, v5, 1.0                                  // 00000000796C: D1010005 0001E505
	v_add_f32_e64 v6, v6, 1.0                                  // 000000007974: D1010006 0001E506
	v_add_f32_e64 v7, v7, 1.0                                  // 00000000797C: D1010007 0001E507
	v_rcp_f32_e32 v4, v4                                       // 000000007984: 7E084504
	v_rcp_f32_e32 v5, v5                                       // 000000007988: 7E0A4505
	v_rcp_f32_e32 v6, v6                                       // 00000000798C: 7E0C4506
	v_rcp_f32_e32 v7, v7                                       // 000000007990: 7E0E4507
	v_mul_f32_e32 v68, v68, v4                                 // 000000007994: 0A880944
	v_mul_f32_e32 v69, v69, v5                                 // 000000007998: 0A8A0B45
	v_mul_f32_e32 v70, v70, v6                                 // 00000000799C: 0A8C0D46
	v_mul_f32_e32 v71, v71, v7                                 // 0000000079A0: 0A8E0F47
	v_mul_f32_e32 v68, v68, v100                               // 0000000079A4: 0A88C944
	v_mul_f32_e32 v69, v69, v101                               // 0000000079A8: 0A8ACB45
	v_mul_f32_e32 v70, v70, v102                               // 0000000079AC: 0A8CCD46
	v_mul_f32_e32 v71, v71, v103                               // 0000000079B0: 0A8ECF47
	v_mul_f32_e64 v4, -v72, s6                                 // 0000000079B4: D1050004 20000D48
	v_mul_f32_e64 v5, -v73, s6                                 // 0000000079BC: D1050005 20000D49
	v_mul_f32_e64 v6, -v74, s6                                 // 0000000079C4: D1050006 20000D4A
	v_mul_f32_e64 v7, -v75, s6                                 // 0000000079CC: D1050007 20000D4B
	v_exp_f32_e32 v4, v4                                       // 0000000079D4: 7E084104
	v_exp_f32_e32 v5, v5                                       // 0000000079D8: 7E0A4105
	v_exp_f32_e32 v6, v6                                       // 0000000079DC: 7E0C4106
	v_exp_f32_e32 v7, v7                                       // 0000000079E0: 7E0E4107
	v_add_f32_e64 v4, v4, 1.0                                  // 0000000079E4: D1010004 0001E504
	v_add_f32_e64 v5, v5, 1.0                                  // 0000000079EC: D1010005 0001E505
	v_add_f32_e64 v6, v6, 1.0                                  // 0000000079F4: D1010006 0001E506
	v_add_f32_e64 v7, v7, 1.0                                  // 0000000079FC: D1010007 0001E507
	v_rcp_f32_e32 v4, v4                                       // 000000007A04: 7E084504
	v_rcp_f32_e32 v5, v5                                       // 000000007A08: 7E0A4505
	v_rcp_f32_e32 v6, v6                                       // 000000007A0C: 7E0C4506
	v_rcp_f32_e32 v7, v7                                       // 000000007A10: 7E0E4507
	v_mul_f32_e32 v72, v72, v4                                 // 000000007A14: 0A900948
	v_mul_f32_e32 v73, v73, v5                                 // 000000007A18: 0A920B49
	v_mul_f32_e32 v74, v74, v6                                 // 000000007A1C: 0A940D4A
	v_mul_f32_e32 v75, v75, v7                                 // 000000007A20: 0A960F4B
	v_mul_f32_e32 v72, v72, v104                               // 000000007A24: 0A90D148
	v_mul_f32_e32 v73, v73, v105                               // 000000007A28: 0A92D349
	v_mul_f32_e32 v74, v74, v106                               // 000000007A2C: 0A94D54A
	v_mul_f32_e32 v75, v75, v107                               // 000000007A30: 0A96D74B
	v_mul_f32_e64 v4, -v76, s6                                 // 000000007A34: D1050004 20000D4C
	v_mul_f32_e64 v5, -v77, s6                                 // 000000007A3C: D1050005 20000D4D
	v_mul_f32_e64 v6, -v78, s6                                 // 000000007A44: D1050006 20000D4E
	v_mul_f32_e64 v7, -v79, s6                                 // 000000007A4C: D1050007 20000D4F
	v_exp_f32_e32 v4, v4                                       // 000000007A54: 7E084104
	v_exp_f32_e32 v5, v5                                       // 000000007A58: 7E0A4105
	v_exp_f32_e32 v6, v6                                       // 000000007A5C: 7E0C4106
	v_exp_f32_e32 v7, v7                                       // 000000007A60: 7E0E4107
	v_add_f32_e64 v4, v4, 1.0                                  // 000000007A64: D1010004 0001E504
	v_add_f32_e64 v5, v5, 1.0                                  // 000000007A6C: D1010005 0001E505
	v_add_f32_e64 v6, v6, 1.0                                  // 000000007A74: D1010006 0001E506
	v_add_f32_e64 v7, v7, 1.0                                  // 000000007A7C: D1010007 0001E507
	v_rcp_f32_e32 v4, v4                                       // 000000007A84: 7E084504
	v_rcp_f32_e32 v5, v5                                       // 000000007A88: 7E0A4505
	v_rcp_f32_e32 v6, v6                                       // 000000007A8C: 7E0C4506
	v_rcp_f32_e32 v7, v7                                       // 000000007A90: 7E0E4507
	v_mul_f32_e32 v76, v76, v4                                 // 000000007A94: 0A98094C
	v_mul_f32_e32 v77, v77, v5                                 // 000000007A98: 0A9A0B4D
	v_mul_f32_e32 v78, v78, v6                                 // 000000007A9C: 0A9C0D4E
	v_mul_f32_e32 v79, v79, v7                                 // 000000007AA0: 0A9E0F4F
	v_mul_f32_e32 v76, v76, v108                               // 000000007AA4: 0A98D94C
	v_mul_f32_e32 v77, v77, v109                               // 000000007AA8: 0A9ADB4D
	v_mul_f32_e32 v78, v78, v110                               // 000000007AAC: 0A9CDD4E
	v_mul_f32_e32 v79, v79, v111                               // 000000007AB0: 0A9EDF4F
	v_mul_f32_e64 v4, -v80, s6                                 // 000000007AB4: D1050004 20000D50
	v_mul_f32_e64 v5, -v81, s6                                 // 000000007ABC: D1050005 20000D51
	v_mul_f32_e64 v6, -v82, s6                                 // 000000007AC4: D1050006 20000D52
	v_mul_f32_e64 v7, -v83, s6                                 // 000000007ACC: D1050007 20000D53
	v_exp_f32_e32 v4, v4                                       // 000000007AD4: 7E084104
	v_exp_f32_e32 v5, v5                                       // 000000007AD8: 7E0A4105
	v_exp_f32_e32 v6, v6                                       // 000000007ADC: 7E0C4106
	v_exp_f32_e32 v7, v7                                       // 000000007AE0: 7E0E4107
	v_add_f32_e64 v4, v4, 1.0                                  // 000000007AE4: D1010004 0001E504
	v_add_f32_e64 v5, v5, 1.0                                  // 000000007AEC: D1010005 0001E505
	v_add_f32_e64 v6, v6, 1.0                                  // 000000007AF4: D1010006 0001E506
	v_add_f32_e64 v7, v7, 1.0                                  // 000000007AFC: D1010007 0001E507
	v_rcp_f32_e32 v4, v4                                       // 000000007B04: 7E084504
	v_rcp_f32_e32 v5, v5                                       // 000000007B08: 7E0A4505
	v_rcp_f32_e32 v6, v6                                       // 000000007B0C: 7E0C4506
	v_rcp_f32_e32 v7, v7                                       // 000000007B10: 7E0E4507
	v_mul_f32_e32 v80, v80, v4                                 // 000000007B14: 0AA00950
	v_mul_f32_e32 v81, v81, v5                                 // 000000007B18: 0AA20B51
	v_mul_f32_e32 v82, v82, v6                                 // 000000007B1C: 0AA40D52
	v_mul_f32_e32 v83, v83, v7                                 // 000000007B20: 0AA60F53
	v_mul_f32_e32 v80, v80, v112                               // 000000007B24: 0AA0E150
	v_mul_f32_e32 v81, v81, v113                               // 000000007B28: 0AA2E351
	v_mul_f32_e32 v82, v82, v114                               // 000000007B2C: 0AA4E552
	v_mul_f32_e32 v83, v83, v115                               // 000000007B30: 0AA6E753
	v_mul_f32_e64 v4, -v84, s6                                 // 000000007B34: D1050004 20000D54
	v_mul_f32_e64 v5, -v85, s6                                 // 000000007B3C: D1050005 20000D55
	v_mul_f32_e64 v6, -v86, s6                                 // 000000007B44: D1050006 20000D56
	v_mul_f32_e64 v7, -v87, s6                                 // 000000007B4C: D1050007 20000D57
	v_exp_f32_e32 v4, v4                                       // 000000007B54: 7E084104
	v_exp_f32_e32 v5, v5                                       // 000000007B58: 7E0A4105
	v_exp_f32_e32 v6, v6                                       // 000000007B5C: 7E0C4106
	v_exp_f32_e32 v7, v7                                       // 000000007B60: 7E0E4107
	v_add_f32_e64 v4, v4, 1.0                                  // 000000007B64: D1010004 0001E504
	v_add_f32_e64 v5, v5, 1.0                                  // 000000007B6C: D1010005 0001E505
	v_add_f32_e64 v6, v6, 1.0                                  // 000000007B74: D1010006 0001E506
	v_add_f32_e64 v7, v7, 1.0                                  // 000000007B7C: D1010007 0001E507
	v_rcp_f32_e32 v4, v4                                       // 000000007B84: 7E084504
	v_rcp_f32_e32 v5, v5                                       // 000000007B88: 7E0A4505
	v_rcp_f32_e32 v6, v6                                       // 000000007B8C: 7E0C4506
	v_rcp_f32_e32 v7, v7                                       // 000000007B90: 7E0E4507
	v_mul_f32_e32 v84, v84, v4                                 // 000000007B94: 0AA80954
	v_mul_f32_e32 v85, v85, v5                                 // 000000007B98: 0AAA0B55
	v_mul_f32_e32 v86, v86, v6                                 // 000000007B9C: 0AAC0D56
	v_mul_f32_e32 v87, v87, v7                                 // 000000007BA0: 0AAE0F57
	v_mul_f32_e32 v84, v84, v116                               // 000000007BA4: 0AA8E954
	v_mul_f32_e32 v85, v85, v117                               // 000000007BA8: 0AAAEB55
	v_mul_f32_e32 v86, v86, v118                               // 000000007BAC: 0AACED56
	v_mul_f32_e32 v87, v87, v119                               // 000000007BB0: 0AAEEF57

0000000000007bb4 <label_1470>:
	s_cmp_eq_u32 s7, 0                                         // 000000007BB4: BF068007
	s_cbranch_scc0 label_1480                                  // 000000007BB8: BF84000E
	v_and_b32_e32 v4, 15, v0                                   // 000000007BBC: 2608008F
	v_lshlrev_b32_e32 v4, 2, v4                                // 000000007BC0: 24080882
	buffer_load_dword v28, v4, s[12:15], 0 offen               // 000000007BC4: E0501000 80031C04
	v_add_u32_e32 v4, 64, v4                                   // 000000007BCC: 680808C0
	buffer_load_dword v29, v4, s[12:15], 0 offen               // 000000007BD0: E0501000 80031D04
	v_add_u32_e32 v4, 64, v4                                   // 000000007BD8: 680808C0
	buffer_load_dword v30, v4, s[12:15], 0 offen               // 000000007BDC: E0501000 80031E04
	v_add_u32_e32 v4, 64, v4                                   // 000000007BE4: 680808C0
	buffer_load_dword v31, v4, s[12:15], 0 offen               // 000000007BE8: E0501000 80031F04
	v_add_u32_e32 v4, 64, v4                                   // 000000007BF0: 680808C0

0000000000007bf4 <label_1480>:
	v_lshlrev_b32_e32 v4, 2, v0                                // 000000007BF4: 24080082
	s_mul_i32 s60, 0x100, s7                                   // 000000007BF8: 923C07FF 00000100
	v_add_u32_e32 v92, s60, v4                                 // 000000007C00: 68B8083C
	v_and_b32_e32 v4, 15, v0                                   // 000000007C04: 2608008F
	v_lshlrev_b32_e32 v93, 2, v4                               // 000000007C08: 24BA0882
	s_waitcnt lgkmcnt(0)                                       // 000000007C0C: BF8CC07F
	s_barrier                                                  // 000000007C10: BF8A0000
	v_mov_b32_e32 v88, 0x358637bd                              // 000000007C14: 7EB002FF 358637BD
	v_max3_f32 v88, |v56|, |v57|, v88                          // 000000007C1C: D1D30358 05627338
	v_max3_f32 v88, |v58|, |v59|, v88                          // 000000007C24: D1D30358 0562773A
	v_max3_f32 v88, |v72|, |v73|, v88                          // 000000007C2C: D1D30358 05629348
	v_max3_f32 v88, |v74|, |v75|, v88                          // 000000007C34: D1D30358 0562974A
	ds_write_b32 v92, v88                                      // 000000007C3C: D81A0000 0000585C
	s_waitcnt lgkmcnt(0)                                       // 000000007C44: BF8CC07F
	s_barrier                                                  // 000000007C48: BF8A0000
	ds_read_b32 v4, v93                                        // 000000007C4C: D86C0000 0400005D
	ds_read_b32 v5, v93 offset:64                              // 000000007C54: D86C0040 0500005D
	ds_read_b32 v6, v93 offset:128                             // 000000007C5C: D86C0080 0600005D
	ds_read_b32 v7, v93 offset:192                             // 000000007C64: D86C00C0 0700005D
	ds_read_b32 v8, v93 offset:256                             // 000000007C6C: D86C0100 0800005D
	ds_read_b32 v9, v93 offset:320                             // 000000007C74: D86C0140 0900005D
	ds_read_b32 v10, v93 offset:384                            // 000000007C7C: D86C0180 0A00005D
	ds_read_b32 v11, v93 offset:448                            // 000000007C84: D86C01C0 0B00005D
	ds_read_b32 v12, v93 offset:512                            // 000000007C8C: D86C0200 0C00005D
	ds_read_b32 v13, v93 offset:576                            // 000000007C94: D86C0240 0D00005D
	ds_read_b32 v14, v93 offset:640                            // 000000007C9C: D86C0280 0E00005D
	ds_read_b32 v15, v93 offset:704                            // 000000007CA4: D86C02C0 0F00005D
	ds_read_b32 v16, v93 offset:768                            // 000000007CAC: D86C0300 1000005D
	ds_read_b32 v17, v93 offset:832                            // 000000007CB4: D86C0340 1100005D
	ds_read_b32 v18, v93 offset:896                            // 000000007CBC: D86C0380 1200005D
	ds_read_b32 v19, v93 offset:960                            // 000000007CC4: D86C03C0 1300005D
	s_waitcnt lgkmcnt(0)                                       // 000000007CCC: BF8CC07F
	s_barrier                                                  // 000000007CD0: BF8A0000
	v_max3_f32 v88, |v4|, |v5|, v88                            // 000000007CD4: D1D30358 05620B04
	v_max3_f32 v88, |v6|, |v7|, v88                            // 000000007CDC: D1D30358 05620F06
	v_max3_f32 v88, |v8|, |v9|, v88                            // 000000007CE4: D1D30358 05621308
	v_max3_f32 v88, |v10|, |v11|, v88                          // 000000007CEC: D1D30358 0562170A
	v_max3_f32 v88, |v12|, |v13|, v88                          // 000000007CF4: D1D30358 05621B0C
	v_max3_f32 v88, |v14|, |v15|, v88                          // 000000007CFC: D1D30358 05621F0E
	v_max3_f32 v88, |v16|, |v17|, v88                          // 000000007D04: D1D30358 05622310
	v_max3_f32 v88, |v18|, |v19|, v88                          // 000000007D0C: D1D30358 05622712
	v_rcp_f32_e32 v88, v88                                     // 000000007D14: 7EB04558
	v_mov_b32_e32 v4, 0x43700000                               // 000000007D18: 7E0802FF 43700000
	v_mul_f32_e32 v88, v4, v88                                 // 000000007D20: 0AB0B104
	v_mov_b32_e32 v4, v88                                      // 000000007D24: 7E080358
	v_mov_b32_e32 v5, v4                                       // 000000007D28: 7E0A0304
	v_pk_mul_f32 v[56:57], v[4:5], v[56:57]                    // 000000007D2C: D3B14038 18027104
	v_pk_mul_f32 v[58:59], v[4:5], v[58:59]                    // 000000007D34: D3B1403A 18027504
	v_cvt_pk_fp8_f32 v56, v56, v57                             // 000000007D3C: D2A20038 00027338
	v_cvt_pk_fp8_f32 v56, v58, v59 op_sel:[0,0,1]              // 000000007D44: D2A24038 0002773A
	v_pk_mul_f32 v[72:73], v[4:5], v[72:73]                    // 000000007D4C: D3B14048 18029104
	v_pk_mul_f32 v[74:75], v[4:5], v[74:75]                    // 000000007D54: D3B1404A 18029504
	v_cvt_pk_fp8_f32 v72, v72, v73                             // 000000007D5C: D2A20048 00029348
	v_cvt_pk_fp8_f32 v72, v74, v75 op_sel:[0,0,1]              // 000000007D64: D2A24048 0002974A
	v_rcp_f32_e32 v88, v88                                     // 000000007D6C: 7EB04558
	v_mov_b32_e32 v89, 0x358637bd                              // 000000007D70: 7EB202FF 358637BD
	v_max3_f32 v89, |v60|, |v61|, v89                          // 000000007D78: D1D30359 05667B3C
	v_max3_f32 v89, |v62|, |v63|, v89                          // 000000007D80: D1D30359 05667F3E
	v_max3_f32 v89, |v76|, |v77|, v89                          // 000000007D88: D1D30359 05669B4C
	v_max3_f32 v89, |v78|, |v79|, v89                          // 000000007D90: D1D30359 05669F4E
	ds_write_b32 v92, v89                                      // 000000007D98: D81A0000 0000595C
	s_waitcnt lgkmcnt(0)                                       // 000000007DA0: BF8CC07F
	s_barrier                                                  // 000000007DA4: BF8A0000
	ds_read_b32 v4, v93                                        // 000000007DA8: D86C0000 0400005D
	ds_read_b32 v5, v93 offset:64                              // 000000007DB0: D86C0040 0500005D
	ds_read_b32 v6, v93 offset:128                             // 000000007DB8: D86C0080 0600005D
	ds_read_b32 v7, v93 offset:192                             // 000000007DC0: D86C00C0 0700005D
	ds_read_b32 v8, v93 offset:256                             // 000000007DC8: D86C0100 0800005D
	ds_read_b32 v9, v93 offset:320                             // 000000007DD0: D86C0140 0900005D
	ds_read_b32 v10, v93 offset:384                            // 000000007DD8: D86C0180 0A00005D
	ds_read_b32 v11, v93 offset:448                            // 000000007DE0: D86C01C0 0B00005D
	ds_read_b32 v12, v93 offset:512                            // 000000007DE8: D86C0200 0C00005D
	ds_read_b32 v13, v93 offset:576                            // 000000007DF0: D86C0240 0D00005D
	ds_read_b32 v14, v93 offset:640                            // 000000007DF8: D86C0280 0E00005D
	ds_read_b32 v15, v93 offset:704                            // 000000007E00: D86C02C0 0F00005D
	ds_read_b32 v16, v93 offset:768                            // 000000007E08: D86C0300 1000005D
	ds_read_b32 v17, v93 offset:832                            // 000000007E10: D86C0340 1100005D
	ds_read_b32 v18, v93 offset:896                            // 000000007E18: D86C0380 1200005D
	ds_read_b32 v19, v93 offset:960                            // 000000007E20: D86C03C0 1300005D
	s_waitcnt lgkmcnt(0)                                       // 000000007E28: BF8CC07F
	s_barrier                                                  // 000000007E2C: BF8A0000
	v_max3_f32 v89, |v4|, |v5|, v89                            // 000000007E30: D1D30359 05660B04
	v_max3_f32 v89, |v6|, |v7|, v89                            // 000000007E38: D1D30359 05660F06
	v_max3_f32 v89, |v8|, |v9|, v89                            // 000000007E40: D1D30359 05661308
	v_max3_f32 v89, |v10|, |v11|, v89                          // 000000007E48: D1D30359 0566170A
	v_max3_f32 v89, |v12|, |v13|, v89                          // 000000007E50: D1D30359 05661B0C
	v_max3_f32 v89, |v14|, |v15|, v89                          // 000000007E58: D1D30359 05661F0E
	v_max3_f32 v89, |v16|, |v17|, v89                          // 000000007E60: D1D30359 05662310
	v_max3_f32 v89, |v18|, |v19|, v89                          // 000000007E68: D1D30359 05662712
	v_rcp_f32_e32 v89, v89                                     // 000000007E70: 7EB24559
	v_mov_b32_e32 v4, 0x43700000                               // 000000007E74: 7E0802FF 43700000
	v_mul_f32_e32 v89, v4, v89                                 // 000000007E7C: 0AB2B304
	v_mov_b32_e32 v4, v89                                      // 000000007E80: 7E080359
	v_mov_b32_e32 v5, v4                                       // 000000007E84: 7E0A0304
	v_pk_mul_f32 v[60:61], v[4:5], v[60:61]                    // 000000007E88: D3B1403C 18027904
	v_pk_mul_f32 v[62:63], v[4:5], v[62:63]                    // 000000007E90: D3B1403E 18027D04
	v_cvt_pk_fp8_f32 v60, v60, v61                             // 000000007E98: D2A2003C 00027B3C
	v_cvt_pk_fp8_f32 v60, v62, v63 op_sel:[0,0,1]              // 000000007EA0: D2A2403C 00027F3E
	v_pk_mul_f32 v[76:77], v[4:5], v[76:77]                    // 000000007EA8: D3B1404C 18029904
	v_pk_mul_f32 v[78:79], v[4:5], v[78:79]                    // 000000007EB0: D3B1404E 18029D04
	v_cvt_pk_fp8_f32 v76, v76, v77                             // 000000007EB8: D2A2004C 00029B4C
	v_cvt_pk_fp8_f32 v76, v78, v79 op_sel:[0,0,1]              // 000000007EC0: D2A2404C 00029F4E
	v_rcp_f32_e32 v89, v89                                     // 000000007EC8: 7EB24559
	v_mov_b32_e32 v90, 0x358637bd                              // 000000007ECC: 7EB402FF 358637BD
	v_max3_f32 v90, |v64|, |v65|, v90                          // 000000007ED4: D1D3035A 056A8340
	v_max3_f32 v90, |v66|, |v67|, v90                          // 000000007EDC: D1D3035A 056A8742
	v_max3_f32 v90, |v80|, |v81|, v90                          // 000000007EE4: D1D3035A 056AA350
	v_max3_f32 v90, |v82|, |v83|, v90                          // 000000007EEC: D1D3035A 056AA752
	ds_write_b32 v92, v90                                      // 000000007EF4: D81A0000 00005A5C
	s_waitcnt lgkmcnt(0)                                       // 000000007EFC: BF8CC07F
	s_barrier                                                  // 000000007F00: BF8A0000
	ds_read_b32 v4, v93                                        // 000000007F04: D86C0000 0400005D
	ds_read_b32 v5, v93 offset:64                              // 000000007F0C: D86C0040 0500005D
	ds_read_b32 v6, v93 offset:128                             // 000000007F14: D86C0080 0600005D
	ds_read_b32 v7, v93 offset:192                             // 000000007F1C: D86C00C0 0700005D
	ds_read_b32 v8, v93 offset:256                             // 000000007F24: D86C0100 0800005D
	ds_read_b32 v9, v93 offset:320                             // 000000007F2C: D86C0140 0900005D
	ds_read_b32 v10, v93 offset:384                            // 000000007F34: D86C0180 0A00005D
	ds_read_b32 v11, v93 offset:448                            // 000000007F3C: D86C01C0 0B00005D
	ds_read_b32 v12, v93 offset:512                            // 000000007F44: D86C0200 0C00005D
	ds_read_b32 v13, v93 offset:576                            // 000000007F4C: D86C0240 0D00005D
	ds_read_b32 v14, v93 offset:640                            // 000000007F54: D86C0280 0E00005D
	ds_read_b32 v15, v93 offset:704                            // 000000007F5C: D86C02C0 0F00005D
	ds_read_b32 v16, v93 offset:768                            // 000000007F64: D86C0300 1000005D
	ds_read_b32 v17, v93 offset:832                            // 000000007F6C: D86C0340 1100005D
	ds_read_b32 v18, v93 offset:896                            // 000000007F74: D86C0380 1200005D
	ds_read_b32 v19, v93 offset:960                            // 000000007F7C: D86C03C0 1300005D
	s_waitcnt lgkmcnt(0)                                       // 000000007F84: BF8CC07F
	s_barrier                                                  // 000000007F88: BF8A0000
	v_max3_f32 v90, |v4|, |v5|, v90                            // 000000007F8C: D1D3035A 056A0B04
	v_max3_f32 v90, |v6|, |v7|, v90                            // 000000007F94: D1D3035A 056A0F06
	v_max3_f32 v90, |v8|, |v9|, v90                            // 000000007F9C: D1D3035A 056A1308
	v_max3_f32 v90, |v10|, |v11|, v90                          // 000000007FA4: D1D3035A 056A170A
	v_max3_f32 v90, |v12|, |v13|, v90                          // 000000007FAC: D1D3035A 056A1B0C
	v_max3_f32 v90, |v14|, |v15|, v90                          // 000000007FB4: D1D3035A 056A1F0E
	v_max3_f32 v90, |v16|, |v17|, v90                          // 000000007FBC: D1D3035A 056A2310
	v_max3_f32 v90, |v18|, |v19|, v90                          // 000000007FC4: D1D3035A 056A2712
	v_rcp_f32_e32 v90, v90                                     // 000000007FCC: 7EB4455A
	v_mov_b32_e32 v4, 0x43700000                               // 000000007FD0: 7E0802FF 43700000
	v_mul_f32_e32 v90, v4, v90                                 // 000000007FD8: 0AB4B504
	v_mov_b32_e32 v4, v90                                      // 000000007FDC: 7E08035A
	v_mov_b32_e32 v5, v4                                       // 000000007FE0: 7E0A0304
	v_pk_mul_f32 v[64:65], v[4:5], v[64:65]                    // 000000007FE4: D3B14040 18028104
	v_pk_mul_f32 v[66:67], v[4:5], v[66:67]                    // 000000007FEC: D3B14042 18028504
	v_cvt_pk_fp8_f32 v64, v64, v65                             // 000000007FF4: D2A20040 00028340
	v_cvt_pk_fp8_f32 v64, v66, v67 op_sel:[0,0,1]              // 000000007FFC: D2A24040 00028742
	v_pk_mul_f32 v[80:81], v[4:5], v[80:81]                    // 000000008004: D3B14050 1802A104
	v_pk_mul_f32 v[82:83], v[4:5], v[82:83]                    // 00000000800C: D3B14052 1802A504
	v_cvt_pk_fp8_f32 v80, v80, v81                             // 000000008014: D2A20050 0002A350
	v_cvt_pk_fp8_f32 v80, v82, v83 op_sel:[0,0,1]              // 00000000801C: D2A24050 0002A752
	v_rcp_f32_e32 v90, v90                                     // 000000008024: 7EB4455A
	v_mov_b32_e32 v91, 0x358637bd                              // 000000008028: 7EB602FF 358637BD
	v_max3_f32 v91, |v68|, |v69|, v91                          // 000000008030: D1D3035B 056E8B44
	v_max3_f32 v91, |v70|, |v71|, v91                          // 000000008038: D1D3035B 056E8F46
	v_max3_f32 v91, |v84|, |v85|, v91                          // 000000008040: D1D3035B 056EAB54
	v_max3_f32 v91, |v86|, |v87|, v91                          // 000000008048: D1D3035B 056EAF56
	ds_write_b32 v92, v91                                      // 000000008050: D81A0000 00005B5C
	s_waitcnt lgkmcnt(0)                                       // 000000008058: BF8CC07F
	s_barrier                                                  // 00000000805C: BF8A0000
	ds_read_b32 v4, v93                                        // 000000008060: D86C0000 0400005D
	ds_read_b32 v5, v93 offset:64                              // 000000008068: D86C0040 0500005D
	ds_read_b32 v6, v93 offset:128                             // 000000008070: D86C0080 0600005D
	ds_read_b32 v7, v93 offset:192                             // 000000008078: D86C00C0 0700005D
	ds_read_b32 v8, v93 offset:256                             // 000000008080: D86C0100 0800005D
	ds_read_b32 v9, v93 offset:320                             // 000000008088: D86C0140 0900005D
	ds_read_b32 v10, v93 offset:384                            // 000000008090: D86C0180 0A00005D
	ds_read_b32 v11, v93 offset:448                            // 000000008098: D86C01C0 0B00005D
	ds_read_b32 v12, v93 offset:512                            // 0000000080A0: D86C0200 0C00005D
	ds_read_b32 v13, v93 offset:576                            // 0000000080A8: D86C0240 0D00005D
	ds_read_b32 v14, v93 offset:640                            // 0000000080B0: D86C0280 0E00005D
	ds_read_b32 v15, v93 offset:704                            // 0000000080B8: D86C02C0 0F00005D
	ds_read_b32 v16, v93 offset:768                            // 0000000080C0: D86C0300 1000005D
	ds_read_b32 v17, v93 offset:832                            // 0000000080C8: D86C0340 1100005D
	ds_read_b32 v18, v93 offset:896                            // 0000000080D0: D86C0380 1200005D
	ds_read_b32 v19, v93 offset:960                            // 0000000080D8: D86C03C0 1300005D
	s_waitcnt lgkmcnt(0)                                       // 0000000080E0: BF8CC07F
	s_barrier                                                  // 0000000080E4: BF8A0000
	v_max3_f32 v91, |v4|, |v5|, v91                            // 0000000080E8: D1D3035B 056E0B04
	v_max3_f32 v91, |v6|, |v7|, v91                            // 0000000080F0: D1D3035B 056E0F06
	v_max3_f32 v91, |v8|, |v9|, v91                            // 0000000080F8: D1D3035B 056E1308
	v_max3_f32 v91, |v10|, |v11|, v91                          // 000000008100: D1D3035B 056E170A
	v_max3_f32 v91, |v12|, |v13|, v91                          // 000000008108: D1D3035B 056E1B0C
	v_max3_f32 v91, |v14|, |v15|, v91                          // 000000008110: D1D3035B 056E1F0E
	v_max3_f32 v91, |v16|, |v17|, v91                          // 000000008118: D1D3035B 056E2310
	v_max3_f32 v91, |v18|, |v19|, v91                          // 000000008120: D1D3035B 056E2712
	v_rcp_f32_e32 v91, v91                                     // 000000008128: 7EB6455B
	v_mov_b32_e32 v4, 0x43700000                               // 00000000812C: 7E0802FF 43700000
	v_mul_f32_e32 v91, v4, v91                                 // 000000008134: 0AB6B704
	v_mov_b32_e32 v4, v91                                      // 000000008138: 7E08035B
	v_mov_b32_e32 v5, v4                                       // 00000000813C: 7E0A0304
	v_pk_mul_f32 v[68:69], v[4:5], v[68:69]                    // 000000008140: D3B14044 18028904
	v_pk_mul_f32 v[70:71], v[4:5], v[70:71]                    // 000000008148: D3B14046 18028D04
	v_cvt_pk_fp8_f32 v68, v68, v69                             // 000000008150: D2A20044 00028B44
	v_cvt_pk_fp8_f32 v68, v70, v71 op_sel:[0,0,1]              // 000000008158: D2A24044 00028F46
	v_pk_mul_f32 v[84:85], v[4:5], v[84:85]                    // 000000008160: D3B14054 1802A904
	v_pk_mul_f32 v[86:87], v[4:5], v[86:87]                    // 000000008168: D3B14056 1802AD04
	v_cvt_pk_fp8_f32 v84, v84, v85                             // 000000008170: D2A20054 0002AB54
	v_cvt_pk_fp8_f32 v84, v86, v87 op_sel:[0,0,1]              // 000000008178: D2A24054 0002AF56
	v_rcp_f32_e32 v91, v91                                     // 000000008180: 7EB6455B
	v_lshrrev_b32_e32 v4, 5, v0                                // 000000008184: 20080085
	v_mul_lo_u32 v20, 34, v4                                   // 000000008188: D2850014 000208A2
	v_and_b32_e32 v4, 31, v0                                   // 000000008190: 2608009F
	v_lshrrev_b32_e32 v5, 4, v4                                // 000000008194: 200A0884
	v_add_u32_e32 v20, v5, v20                                 // 000000008198: 68282905
	v_and_b32_e32 v4, 15, v0                                   // 00000000819C: 2608008F
	v_mul_lo_u32 v5, 2, v4                                     // 0000000081A0: D2850005 00020882
	v_add_u32_e32 v20, v5, v20                                 // 0000000081A8: 68282905
	s_mul_i32 s60, s7, 0x44                                    // 0000000081AC: 923CFF07 00000044
	v_add_u32_e32 v20, s60, v20                                // 0000000081B4: 6828283C
	v_lshlrev_b32_e32 v20, 2, v20                              // 0000000081B8: 24282882
	ds_write_b32 v20, v56                                      // 0000000081BC: D81A0000 00003814
	ds_write_b32 v20, v60 offset:2176                          // 0000000081C4: D81A0880 00003C14
	ds_write_b32 v20, v64 offset:4352                          // 0000000081CC: D81A1100 00004014
	ds_write_b32 v20, v68 offset:6528                          // 0000000081D4: D81A1980 00004414
	ds_write_b32 v20, v72 offset:1088                          // 0000000081DC: D81A0440 00004814
	ds_write_b32 v20, v76 offset:3264                          // 0000000081E4: D81A0CC0 00004C14
	ds_write_b32 v20, v80 offset:5440                          // 0000000081EC: D81A1540 00005014
	ds_write_b32 v20, v84 offset:7616                          // 0000000081F4: D81A1DC0 00005414
	v_lshrrev_b32_e32 v4, 5, v0                                // 0000000081FC: 20080085
	v_xor_b32_e32 v5, 1, v4                                    // 000000008200: 2A0A0881
	s_mul_i32 s60, s65, 1                                      // 000000008204: 923C8141
	s_cmp_eq_u32 s88, 0                                        // 000000008208: BF068058
	s_cselect_b32 s61, 1, 8                                    // 00000000820C: 853D8881
	s_mul_i32 s60, s61, s60                                    // 000000008210: 923C3C3D
	v_readlane_b32 s82, v3, 0                                  // 000000008214: D2890052 00010103
	s_lshr_b32 s61, s82, 24                                    // 00000000821C: 8F3D9852
	s_and_b32 s82, s82, 0xffffff                               // 000000008220: 8652FF52 00FFFFFF
	s_mul_i32 s82, s82, s71                                    // 000000008228: 92524752
	s_mul_i32 s61, s60, s61                                    // 00000000822C: 923D3D3C
	s_add_u32 s82, s82, s61                                    // 000000008230: 80523D52
	v_mul_lo_u32 v6, v5, s82                                   // 000000008234: D2850006 0000A505
	v_readlane_b32 s82, v3, 1                                  // 00000000823C: D2890052 00010303
	s_lshr_b32 s61, s82, 24                                    // 000000008244: 8F3D9852
	s_and_b32 s82, s82, 0xffffff                               // 000000008248: 8652FF52 00FFFFFF
	s_mul_i32 s82, s82, s71                                    // 000000008250: 92524752
	s_mul_i32 s61, s60, s61                                    // 000000008254: 923D3D3C
	s_add_u32 s82, s82, s61                                    // 000000008258: 80523D52
	v_mul_lo_u32 v7, v4, s82                                   // 00000000825C: D2850007 0000A504
	v_add_u32_e32 v44, v6, v7                                  // 000000008264: 68580F06
	v_readlane_b32 s82, v3, 2                                  // 000000008268: D2890052 00010503
	s_lshr_b32 s61, s82, 24                                    // 000000008270: 8F3D9852
	s_and_b32 s82, s82, 0xffffff                               // 000000008274: 8652FF52 00FFFFFF
	s_mul_i32 s82, s82, s71                                    // 00000000827C: 92524752
	s_mul_i32 s61, s60, s61                                    // 000000008280: 923D3D3C
	s_add_u32 s82, s82, s61                                    // 000000008284: 80523D52
	v_mul_lo_u32 v6, v5, s82                                   // 000000008288: D2850006 0000A505
	v_readlane_b32 s82, v3, 3                                  // 000000008290: D2890052 00010703
	s_lshr_b32 s61, s82, 24                                    // 000000008298: 8F3D9852
	s_and_b32 s82, s82, 0xffffff                               // 00000000829C: 8652FF52 00FFFFFF
	s_mul_i32 s82, s82, s71                                    // 0000000082A4: 92524752
	s_mul_i32 s61, s60, s61                                    // 0000000082A8: 923D3D3C
	s_add_u32 s82, s82, s61                                    // 0000000082AC: 80523D52
	v_mul_lo_u32 v7, v4, s82                                   // 0000000082B0: D2850007 0000A504
	v_add_u32_e32 v45, v6, v7                                  // 0000000082B8: 685A0F06
	v_readlane_b32 s82, v3, 4                                  // 0000000082BC: D2890052 00010903
	s_lshr_b32 s61, s82, 24                                    // 0000000082C4: 8F3D9852
	s_and_b32 s82, s82, 0xffffff                               // 0000000082C8: 8652FF52 00FFFFFF
	s_mul_i32 s82, s82, s71                                    // 0000000082D0: 92524752
	s_mul_i32 s61, s60, s61                                    // 0000000082D4: 923D3D3C
	s_add_u32 s82, s82, s61                                    // 0000000082D8: 80523D52
	v_mul_lo_u32 v6, v5, s82                                   // 0000000082DC: D2850006 0000A505
	v_readlane_b32 s82, v3, 5                                  // 0000000082E4: D2890052 00010B03
	s_lshr_b32 s61, s82, 24                                    // 0000000082EC: 8F3D9852
	s_and_b32 s82, s82, 0xffffff                               // 0000000082F0: 8652FF52 00FFFFFF
	s_mul_i32 s82, s82, s71                                    // 0000000082F8: 92524752
	s_mul_i32 s61, s60, s61                                    // 0000000082FC: 923D3D3C
	s_add_u32 s82, s82, s61                                    // 000000008300: 80523D52
	v_mul_lo_u32 v7, v4, s82                                   // 000000008304: D2850007 0000A504
	v_add_u32_e32 v46, v6, v7                                  // 00000000830C: 685C0F06
	v_readlane_b32 s82, v3, 6                                  // 000000008310: D2890052 00010D03
	s_lshr_b32 s61, s82, 24                                    // 000000008318: 8F3D9852
	s_and_b32 s82, s82, 0xffffff                               // 00000000831C: 8652FF52 00FFFFFF
	s_mul_i32 s82, s82, s71                                    // 000000008324: 92524752
	s_mul_i32 s61, s60, s61                                    // 000000008328: 923D3D3C
	s_add_u32 s82, s82, s61                                    // 00000000832C: 80523D52
	v_mul_lo_u32 v6, v5, s82                                   // 000000008330: D2850006 0000A505
	v_readlane_b32 s82, v3, 7                                  // 000000008338: D2890052 00010F03
	s_lshr_b32 s61, s82, 24                                    // 000000008340: 8F3D9852
	s_and_b32 s82, s82, 0xffffff                               // 000000008344: 8652FF52 00FFFFFF
	s_mul_i32 s82, s82, s71                                    // 00000000834C: 92524752
	s_mul_i32 s61, s60, s61                                    // 000000008350: 923D3D3C
	s_add_u32 s82, s82, s61                                    // 000000008354: 80523D52
	v_mul_lo_u32 v7, v4, s82                                   // 000000008358: D2850007 0000A504
	v_add_u32_e32 v47, v6, v7                                  // 000000008360: 685E0F06
	v_readlane_b32 s82, v3, 8                                  // 000000008364: D2890052 00011103
	s_lshr_b32 s61, s82, 24                                    // 00000000836C: 8F3D9852
	s_and_b32 s82, s82, 0xffffff                               // 000000008370: 8652FF52 00FFFFFF
	s_mul_i32 s82, s82, s71                                    // 000000008378: 92524752
	s_mul_i32 s61, s60, s61                                    // 00000000837C: 923D3D3C
	s_add_u32 s82, s82, s61                                    // 000000008380: 80523D52
	v_mul_lo_u32 v6, v5, s82                                   // 000000008384: D2850006 0000A505
	v_readlane_b32 s82, v3, 9                                  // 00000000838C: D2890052 00011303
	s_lshr_b32 s61, s82, 24                                    // 000000008394: 8F3D9852
	s_and_b32 s82, s82, 0xffffff                               // 000000008398: 8652FF52 00FFFFFF
	s_mul_i32 s82, s82, s71                                    // 0000000083A0: 92524752
	s_mul_i32 s61, s60, s61                                    // 0000000083A4: 923D3D3C
	s_add_u32 s82, s82, s61                                    // 0000000083A8: 80523D52
	v_mul_lo_u32 v7, v4, s82                                   // 0000000083AC: D2850007 0000A504
	v_add_u32_e32 v48, v6, v7                                  // 0000000083B4: 68600F06
	v_readlane_b32 s82, v3, 10                                 // 0000000083B8: D2890052 00011503
	s_lshr_b32 s61, s82, 24                                    // 0000000083C0: 8F3D9852
	s_and_b32 s82, s82, 0xffffff                               // 0000000083C4: 8652FF52 00FFFFFF
	s_mul_i32 s82, s82, s71                                    // 0000000083CC: 92524752
	s_mul_i32 s61, s60, s61                                    // 0000000083D0: 923D3D3C
	s_add_u32 s82, s82, s61                                    // 0000000083D4: 80523D52
	v_mul_lo_u32 v6, v5, s82                                   // 0000000083D8: D2850006 0000A505
	v_readlane_b32 s82, v3, 11                                 // 0000000083E0: D2890052 00011703
	s_lshr_b32 s61, s82, 24                                    // 0000000083E8: 8F3D9852
	s_and_b32 s82, s82, 0xffffff                               // 0000000083EC: 8652FF52 00FFFFFF
	s_mul_i32 s82, s82, s71                                    // 0000000083F4: 92524752
	s_mul_i32 s61, s60, s61                                    // 0000000083F8: 923D3D3C
	s_add_u32 s82, s82, s61                                    // 0000000083FC: 80523D52
	v_mul_lo_u32 v7, v4, s82                                   // 000000008400: D2850007 0000A504
	v_add_u32_e32 v49, v6, v7                                  // 000000008408: 68620F06
	v_readlane_b32 s82, v3, 12                                 // 00000000840C: D2890052 00011903
	s_lshr_b32 s61, s82, 24                                    // 000000008414: 8F3D9852
	s_and_b32 s82, s82, 0xffffff                               // 000000008418: 8652FF52 00FFFFFF
	s_mul_i32 s82, s82, s71                                    // 000000008420: 92524752
	s_mul_i32 s61, s60, s61                                    // 000000008424: 923D3D3C
	s_add_u32 s82, s82, s61                                    // 000000008428: 80523D52
	v_mul_lo_u32 v6, v5, s82                                   // 00000000842C: D2850006 0000A505
	v_readlane_b32 s82, v3, 13                                 // 000000008434: D2890052 00011B03
	s_lshr_b32 s61, s82, 24                                    // 00000000843C: 8F3D9852
	s_and_b32 s82, s82, 0xffffff                               // 000000008440: 8652FF52 00FFFFFF
	s_mul_i32 s82, s82, s71                                    // 000000008448: 92524752
	s_mul_i32 s61, s60, s61                                    // 00000000844C: 923D3D3C
	s_add_u32 s82, s82, s61                                    // 000000008450: 80523D52
	v_mul_lo_u32 v7, v4, s82                                   // 000000008454: D2850007 0000A504
	v_add_u32_e32 v50, v6, v7                                  // 00000000845C: 68640F06
	v_readlane_b32 s82, v3, 14                                 // 000000008460: D2890052 00011D03
	s_lshr_b32 s61, s82, 24                                    // 000000008468: 8F3D9852
	s_and_b32 s82, s82, 0xffffff                               // 00000000846C: 8652FF52 00FFFFFF
	s_mul_i32 s82, s82, s71                                    // 000000008474: 92524752
	s_mul_i32 s61, s60, s61                                    // 000000008478: 923D3D3C
	s_add_u32 s82, s82, s61                                    // 00000000847C: 80523D52
	v_mul_lo_u32 v6, v5, s82                                   // 000000008480: D2850006 0000A505
	v_readlane_b32 s82, v3, 15                                 // 000000008488: D2890052 00011F03
	s_lshr_b32 s61, s82, 24                                    // 000000008490: 8F3D9852
	s_and_b32 s82, s82, 0xffffff                               // 000000008494: 8652FF52 00FFFFFF
	s_mul_i32 s82, s82, s71                                    // 00000000849C: 92524752
	s_mul_i32 s61, s60, s61                                    // 0000000084A0: 923D3D3C
	s_add_u32 s82, s82, s61                                    // 0000000084A4: 80523D52
	v_mul_lo_u32 v7, v4, s82                                   // 0000000084A8: D2850007 0000A504
	v_add_u32_e32 v51, v6, v7                                  // 0000000084B0: 68660F06
	v_and_b32_e32 v4, 31, v0                                   // 0000000084B4: 2608009F
	v_lshrrev_b32_e32 v4, 1, v4                                // 0000000084B8: 20080881
	s_cmp_eq_u32 s88, 0                                        // 0000000084BC: BF068058
	s_cselect_b32 s61, 2, 4                                    // 0000000084C0: 853D8482
	v_mul_lo_u32 v4, v4, s61                                   // 0000000084C4: D2850004 00007B04
	v_and_b32_e64 v5, v0, 1                                    // 0000000084CC: D1130005 00010300
	v_add_u32_e32 v4, v4, v5                                   // 0000000084D4: 68080B04
	v_lshlrev_b32_e32 v4, 2, v4                                // 0000000084D8: 24080882
	v_add_u32_e32 v44, v44, v4                                 // 0000000084DC: 6858092C
	v_add_u32_e32 v45, v45, v4                                 // 0000000084E0: 685A092D
	v_add_u32_e32 v46, v46, v4                                 // 0000000084E4: 685C092E
	v_add_u32_e32 v47, v47, v4                                 // 0000000084E8: 685E092F
	v_add_u32_e32 v48, v48, v4                                 // 0000000084EC: 68600930
	v_add_u32_e32 v49, v49, v4                                 // 0000000084F0: 68620931
	v_add_u32_e32 v50, v50, v4                                 // 0000000084F4: 68640932
	v_add_u32_e32 v51, v51, v4                                 // 0000000084F8: 68660933
	s_waitcnt lgkmcnt(0)                                       // 0000000084FC: BF8CC07F
	s_barrier                                                  // 000000008500: BF8A0000
	ds_read_b32 v56, v21                                       // 000000008504: D86C0000 38000015
	ds_read_b32 v57, v21 offset:64                             // 00000000850C: D86C0040 39000015
	ds_read_b32 v58, v21 offset:2176                           // 000000008514: D86C0880 3A000015
	ds_read_b32 v59, v21 offset:2240                           // 00000000851C: D86C08C0 3B000015
	ds_read_b32 v60, v21 offset:4352                           // 000000008524: D86C1100 3C000015
	ds_read_b32 v61, v21 offset:4416                           // 00000000852C: D86C1140 3D000015
	ds_read_b32 v62, v21 offset:6528                           // 000000008534: D86C1980 3E000015
	ds_read_b32 v63, v21 offset:6592                           // 00000000853C: D86C19C0 3F000015
	s_waitcnt lgkmcnt(0)                                       // 000000008544: BF8CC07F
	s_mov_b32 s36, -1                                          // 000000008548: BEA400C1
	s_mov_b32 s37, -1                                          // 00000000854C: BEA500C1
	v_mov_b32_e32 v7, 0                                        // 000000008550: 7E0E0280
	s_or_b32 s9, s9, 0x40000                                   // 000000008554: 8709FF09 00040000
	s_mov_b64 exec, s[36:37]                                   // 00000000855C: BEFE0124
	v_mov_b32_e32 v6, v44                                      // 000000008560: 7E0C032C
	s_mov_b64 s[60:61], 0                                      // 000000008564: BEBC0180
	v_readlane_b32 s82, v3, 0                                  // 000000008568: D2890052 00010103
	s_and_b32 s82, s82, 0xffffff                               // 000000008570: 8652FF52 00FFFFFF
	s_cmp_lt_u32 s82, s66                                      // 000000008578: BF0A4252
	s_cselect_b32 s20, s36, s60                                // 00000000857C: 85143C24
	v_readlane_b32 s82, v3, 1                                  // 000000008580: D2890052 00010303
	s_and_b32 s82, s82, 0xffffff                               // 000000008588: 8652FF52 00FFFFFF
	s_cmp_lt_u32 s82, s66                                      // 000000008590: BF0A4252
	s_cselect_b32 s21, s36, s60                                // 000000008594: 85153C24
	s_mov_b64 exec, s[20:21]                                   // 000000008598: BEFE0114
	buffer_store_dword v56, v6, s[8:11], 0 offen               // 00000000859C: E0701000 80023806
	s_mov_b64 exec, s[36:37]                                   // 0000000085A4: BEFE0124
	v_mov_b32_e32 v6, v45                                      // 0000000085A8: 7E0C032D
	s_mov_b64 s[60:61], 0                                      // 0000000085AC: BEBC0180
	v_readlane_b32 s82, v3, 2                                  // 0000000085B0: D2890052 00010503
	s_and_b32 s82, s82, 0xffffff                               // 0000000085B8: 8652FF52 00FFFFFF
	s_cmp_lt_u32 s82, s66                                      // 0000000085C0: BF0A4252
	s_cselect_b32 s20, s36, s60                                // 0000000085C4: 85143C24
	v_readlane_b32 s82, v3, 3                                  // 0000000085C8: D2890052 00010703
	s_and_b32 s82, s82, 0xffffff                               // 0000000085D0: 8652FF52 00FFFFFF
	s_cmp_lt_u32 s82, s66                                      // 0000000085D8: BF0A4252
	s_cselect_b32 s21, s36, s60                                // 0000000085DC: 85153C24
	s_mov_b64 exec, s[20:21]                                   // 0000000085E0: BEFE0114
	buffer_store_dword v57, v6, s[8:11], 0 offen               // 0000000085E4: E0701000 80023906
	s_mov_b64 exec, s[36:37]                                   // 0000000085EC: BEFE0124
	v_mov_b32_e32 v6, v46                                      // 0000000085F0: 7E0C032E
	s_mov_b64 s[60:61], 0                                      // 0000000085F4: BEBC0180
	v_readlane_b32 s82, v3, 4                                  // 0000000085F8: D2890052 00010903
	s_and_b32 s82, s82, 0xffffff                               // 000000008600: 8652FF52 00FFFFFF
	s_cmp_lt_u32 s82, s66                                      // 000000008608: BF0A4252
	s_cselect_b32 s20, s36, s60                                // 00000000860C: 85143C24
	v_readlane_b32 s82, v3, 5                                  // 000000008610: D2890052 00010B03
	s_and_b32 s82, s82, 0xffffff                               // 000000008618: 8652FF52 00FFFFFF
	s_cmp_lt_u32 s82, s66                                      // 000000008620: BF0A4252
	s_cselect_b32 s21, s36, s60                                // 000000008624: 85153C24
	s_mov_b64 exec, s[20:21]                                   // 000000008628: BEFE0114
	buffer_store_dword v58, v6, s[8:11], 0 offen               // 00000000862C: E0701000 80023A06
	s_mov_b64 exec, s[36:37]                                   // 000000008634: BEFE0124
	v_mov_b32_e32 v6, v47                                      // 000000008638: 7E0C032F
	s_mov_b64 s[60:61], 0                                      // 00000000863C: BEBC0180
	v_readlane_b32 s82, v3, 6                                  // 000000008640: D2890052 00010D03
	s_and_b32 s82, s82, 0xffffff                               // 000000008648: 8652FF52 00FFFFFF
	s_cmp_lt_u32 s82, s66                                      // 000000008650: BF0A4252
	s_cselect_b32 s20, s36, s60                                // 000000008654: 85143C24
	v_readlane_b32 s82, v3, 7                                  // 000000008658: D2890052 00010F03
	s_and_b32 s82, s82, 0xffffff                               // 000000008660: 8652FF52 00FFFFFF
	s_cmp_lt_u32 s82, s66                                      // 000000008668: BF0A4252
	s_cselect_b32 s21, s36, s60                                // 00000000866C: 85153C24
	s_mov_b64 exec, s[20:21]                                   // 000000008670: BEFE0114
	buffer_store_dword v59, v6, s[8:11], 0 offen               // 000000008674: E0701000 80023B06
	s_mov_b64 exec, s[36:37]                                   // 00000000867C: BEFE0124
	v_mov_b32_e32 v6, v48                                      // 000000008680: 7E0C0330
	s_mov_b64 s[60:61], 0                                      // 000000008684: BEBC0180
	v_readlane_b32 s82, v3, 8                                  // 000000008688: D2890052 00011103
	s_and_b32 s82, s82, 0xffffff                               // 000000008690: 8652FF52 00FFFFFF
	s_cmp_lt_u32 s82, s66                                      // 000000008698: BF0A4252
	s_cselect_b32 s20, s36, s60                                // 00000000869C: 85143C24
	v_readlane_b32 s82, v3, 9                                  // 0000000086A0: D2890052 00011303
	s_and_b32 s82, s82, 0xffffff                               // 0000000086A8: 8652FF52 00FFFFFF
	s_cmp_lt_u32 s82, s66                                      // 0000000086B0: BF0A4252
	s_cselect_b32 s21, s36, s60                                // 0000000086B4: 85153C24
	s_mov_b64 exec, s[20:21]                                   // 0000000086B8: BEFE0114
	buffer_store_dword v60, v6, s[8:11], 0 offen               // 0000000086BC: E0701000 80023C06
	s_mov_b64 exec, s[36:37]                                   // 0000000086C4: BEFE0124
	v_mov_b32_e32 v6, v49                                      // 0000000086C8: 7E0C0331
	s_mov_b64 s[60:61], 0                                      // 0000000086CC: BEBC0180
	v_readlane_b32 s82, v3, 10                                 // 0000000086D0: D2890052 00011503
	s_and_b32 s82, s82, 0xffffff                               // 0000000086D8: 8652FF52 00FFFFFF
	s_cmp_lt_u32 s82, s66                                      // 0000000086E0: BF0A4252
	s_cselect_b32 s20, s36, s60                                // 0000000086E4: 85143C24
	v_readlane_b32 s82, v3, 11                                 // 0000000086E8: D2890052 00011703
	s_and_b32 s82, s82, 0xffffff                               // 0000000086F0: 8652FF52 00FFFFFF
	s_cmp_lt_u32 s82, s66                                      // 0000000086F8: BF0A4252
	s_cselect_b32 s21, s36, s60                                // 0000000086FC: 85153C24
	s_mov_b64 exec, s[20:21]                                   // 000000008700: BEFE0114
	buffer_store_dword v61, v6, s[8:11], 0 offen               // 000000008704: E0701000 80023D06
	s_mov_b64 exec, s[36:37]                                   // 00000000870C: BEFE0124
	v_mov_b32_e32 v6, v50                                      // 000000008710: 7E0C0332
	s_mov_b64 s[60:61], 0                                      // 000000008714: BEBC0180
	v_readlane_b32 s82, v3, 12                                 // 000000008718: D2890052 00011903
	s_and_b32 s82, s82, 0xffffff                               // 000000008720: 8652FF52 00FFFFFF
	s_cmp_lt_u32 s82, s66                                      // 000000008728: BF0A4252
	s_cselect_b32 s20, s36, s60                                // 00000000872C: 85143C24
	v_readlane_b32 s82, v3, 13                                 // 000000008730: D2890052 00011B03
	s_and_b32 s82, s82, 0xffffff                               // 000000008738: 8652FF52 00FFFFFF
	s_cmp_lt_u32 s82, s66                                      // 000000008740: BF0A4252
	s_cselect_b32 s21, s36, s60                                // 000000008744: 85153C24
	s_mov_b64 exec, s[20:21]                                   // 000000008748: BEFE0114
	buffer_store_dword v62, v6, s[8:11], 0 offen               // 00000000874C: E0701000 80023E06
	s_mov_b64 exec, s[36:37]                                   // 000000008754: BEFE0124
	v_mov_b32_e32 v6, v51                                      // 000000008758: 7E0C0333
	s_mov_b64 s[60:61], 0                                      // 00000000875C: BEBC0180
	v_readlane_b32 s82, v3, 14                                 // 000000008760: D2890052 00011D03
	s_and_b32 s82, s82, 0xffffff                               // 000000008768: 8652FF52 00FFFFFF
	s_cmp_lt_u32 s82, s66                                      // 000000008770: BF0A4252
	s_cselect_b32 s20, s36, s60                                // 000000008774: 85143C24
	v_readlane_b32 s82, v3, 15                                 // 000000008778: D2890052 00011F03
	s_and_b32 s82, s82, 0xffffff                               // 000000008780: 8652FF52 00FFFFFF
	s_cmp_lt_u32 s82, s66                                      // 000000008788: BF0A4252
	s_cselect_b32 s21, s36, s60                                // 00000000878C: 85153C24
	s_mov_b64 exec, s[20:21]                                   // 000000008790: BEFE0114
	buffer_store_dword v63, v6, s[8:11], 0 offen               // 000000008794: E0701000 80023F06
	s_mov_b64 exec, s[36:37]                                   // 00000000879C: BEFE0124
	s_cmp_eq_u32 s7, 0                                         // 0000000087A0: BF068007
	s_cbranch_scc0 label_1BC2                                  // 0000000087A4: BF840455
	s_waitcnt vmcnt(8)                                         // 0000000087A8: BF8C0F78
	s_mov_b32 s8, s90                                          // 0000000087AC: BE88005A
	s_mov_b32 s9, s91                                          // 0000000087B0: BE89005B
	s_mul_i32 s60, s66, s71                                    // 0000000087B4: 923C4742
	s_add_u32 s8, s60, s8                                      // 0000000087B8: 8008083C
	s_addc_u32 s9, 0, s9                                       // 0000000087BC: 82090980
	s_lshr_b32 s71, s71, 5                                     // 0000000087C0: 8F478547
	s_mul_i32 s60, s66, s71                                    // 0000000087C4: 923C4742
	s_mov_b32 s10, s60                                         // 0000000087C8: BE8A003C
	s_lshr_b32 s61, s65, 5                                     // 0000000087CC: 8F3D8541
	s_mul_i32 s60, s2, 4                                       // 0000000087D0: 923C8402
	v_lshrrev_b32_e32 v4, 24, v28                              // 0000000087D4: 20083898
	v_mul_lo_u32 v4, s61, v4                                   // 0000000087D8: D2850004 0002083D
	v_and_b32_e32 v28, 0xffffff, v28                           // 0000000087E0: 263838FF 00FFFFFF
	v_mul_lo_u32 v28, s71, v28                                 // 0000000087E8: D285001C 00023847
	v_add_u32_e32 v28, v4, v28                                 // 0000000087F0: 68383904
	v_add_u32_e32 v28, s60, v28                                // 0000000087F4: 6838383C
	v_lshrrev_b32_e32 v4, 24, v29                              // 0000000087F8: 20083A98
	v_mul_lo_u32 v4, s61, v4                                   // 0000000087FC: D2850004 0002083D
	v_and_b32_e32 v29, 0xffffff, v29                           // 000000008804: 263A3AFF 00FFFFFF
	v_mul_lo_u32 v29, s71, v29                                 // 00000000880C: D285001D 00023A47
	v_add_u32_e32 v29, v4, v29                                 // 000000008814: 683A3B04
	v_add_u32_e32 v29, s60, v29                                // 000000008818: 683A3A3C
	v_lshrrev_b32_e32 v4, 24, v30                              // 00000000881C: 20083C98
	v_mul_lo_u32 v4, s61, v4                                   // 000000008820: D2850004 0002083D
	v_and_b32_e32 v30, 0xffffff, v30                           // 000000008828: 263C3CFF 00FFFFFF
	v_mul_lo_u32 v30, s71, v30                                 // 000000008830: D285001E 00023C47
	v_add_u32_e32 v30, v4, v30                                 // 000000008838: 683C3D04
	v_add_u32_e32 v30, s60, v30                                // 00000000883C: 683C3C3C
	v_lshrrev_b32_e32 v4, 24, v31                              // 000000008840: 20083E98
	v_mul_lo_u32 v4, s61, v4                                   // 000000008844: D2850004 0002083D
	v_and_b32_e32 v31, 0xffffff, v31                           // 00000000884C: 263E3EFF 00FFFFFF
	v_mul_lo_u32 v31, s71, v31                                 // 000000008854: D285001F 00023E47
	v_add_u32_e32 v31, v4, v31                                 // 00000000885C: 683E3F04
	v_add_u32_e32 v31, s60, v31                                // 000000008860: 683E3E3C
	s_mov_b64 exec, 0xffff                                     // 000000008864: BEFE01FF 0000FFFF
	buffer_store_dword v88, v28, s[8:11], 0 offen              // 00000000886C: E0701000 8002581C
	buffer_store_dword v89, v29, s[8:11], 0 offen              // 000000008874: E0701000 8002591D
	buffer_store_dword v90, v30, s[8:11], 0 offen              // 00000000887C: E0701000 80025A1E
	buffer_store_dword v91, v31, s[8:11], 0 offen              // 000000008884: E0701000 80025B1F
	s_mov_b64 exec, s[36:37]                                   // 00000000888C: BEFE0124
	s_branch label_1BC2                                        // 000000008890: BF82041A

0000000000008894 <label_17A8>:
	ds_write_b64 v20, v[56:57]                                 // 000000008894: D89A0000 00003814
	ds_write_b64 v20, v[60:61] offset:4352                     // 00000000889C: D89A1100 00003C14
	ds_write_b64 v20, v[64:65] offset:8704                     // 0000000088A4: D89A2200 00004014
	ds_write_b64 v20, v[68:69] offset:13056                    // 0000000088AC: D89A3300 00004414
	ds_write_b64 v20, v[72:73] offset:2176                     // 0000000088B4: D89A0880 00004814
	ds_write_b64 v20, v[76:77] offset:6528                     // 0000000088BC: D89A1980 00004C14
	ds_write_b64 v20, v[80:81] offset:10880                    // 0000000088C4: D89A2A80 00005014
	ds_write_b64 v20, v[84:85] offset:15232                    // 0000000088CC: D89A3B80 00005414
	v_lshrrev_b32_e32 v4, 5, v0                                // 0000000088D4: 20080085
	v_xor_b32_e32 v5, 1, v4                                    // 0000000088D8: 2A0A0881
	s_mul_i32 s60, s65, 1                                      // 0000000088DC: 923C8141
	s_cmp_eq_u32 s88, 0                                        // 0000000088E0: BF068058
	s_cselect_b32 s61, 1, 8                                    // 0000000088E4: 853D8881
	s_mul_i32 s60, s61, s60                                    // 0000000088E8: 923C3C3D
	v_readlane_b32 s82, v3, 0                                  // 0000000088EC: D2890052 00010103
	s_lshr_b32 s61, s82, 24                                    // 0000000088F4: 8F3D9852
	s_and_b32 s82, s82, 0xffffff                               // 0000000088F8: 8652FF52 00FFFFFF
	s_mul_i32 s82, s82, s71                                    // 000000008900: 92524752
	s_mul_i32 s61, s60, s61                                    // 000000008904: 923D3D3C
	s_add_u32 s82, s82, s61                                    // 000000008908: 80523D52
	v_mul_lo_u32 v6, v5, s82                                   // 00000000890C: D2850006 0000A505
	v_readlane_b32 s82, v3, 1                                  // 000000008914: D2890052 00010303
	s_lshr_b32 s61, s82, 24                                    // 00000000891C: 8F3D9852
	s_and_b32 s82, s82, 0xffffff                               // 000000008920: 8652FF52 00FFFFFF
	s_mul_i32 s82, s82, s71                                    // 000000008928: 92524752
	s_mul_i32 s61, s60, s61                                    // 00000000892C: 923D3D3C
	s_add_u32 s82, s82, s61                                    // 000000008930: 80523D52
	v_mul_lo_u32 v7, v4, s82                                   // 000000008934: D2850007 0000A504
	v_add_u32_e32 v44, v6, v7                                  // 00000000893C: 68580F06
	v_readlane_b32 s82, v3, 2                                  // 000000008940: D2890052 00010503
	s_lshr_b32 s61, s82, 24                                    // 000000008948: 8F3D9852
	s_and_b32 s82, s82, 0xffffff                               // 00000000894C: 8652FF52 00FFFFFF
	s_mul_i32 s82, s82, s71                                    // 000000008954: 92524752
	s_mul_i32 s61, s60, s61                                    // 000000008958: 923D3D3C
	s_add_u32 s82, s82, s61                                    // 00000000895C: 80523D52
	v_mul_lo_u32 v6, v5, s82                                   // 000000008960: D2850006 0000A505
	v_readlane_b32 s82, v3, 3                                  // 000000008968: D2890052 00010703
	s_lshr_b32 s61, s82, 24                                    // 000000008970: 8F3D9852
	s_and_b32 s82, s82, 0xffffff                               // 000000008974: 8652FF52 00FFFFFF
	s_mul_i32 s82, s82, s71                                    // 00000000897C: 92524752
	s_mul_i32 s61, s60, s61                                    // 000000008980: 923D3D3C
	s_add_u32 s82, s82, s61                                    // 000000008984: 80523D52
	v_mul_lo_u32 v7, v4, s82                                   // 000000008988: D2850007 0000A504
	v_add_u32_e32 v45, v6, v7                                  // 000000008990: 685A0F06
	v_readlane_b32 s82, v3, 4                                  // 000000008994: D2890052 00010903
	s_lshr_b32 s61, s82, 24                                    // 00000000899C: 8F3D9852
	s_and_b32 s82, s82, 0xffffff                               // 0000000089A0: 8652FF52 00FFFFFF
	s_mul_i32 s82, s82, s71                                    // 0000000089A8: 92524752
	s_mul_i32 s61, s60, s61                                    // 0000000089AC: 923D3D3C
	s_add_u32 s82, s82, s61                                    // 0000000089B0: 80523D52
	v_mul_lo_u32 v6, v5, s82                                   // 0000000089B4: D2850006 0000A505
	v_readlane_b32 s82, v3, 5                                  // 0000000089BC: D2890052 00010B03
	s_lshr_b32 s61, s82, 24                                    // 0000000089C4: 8F3D9852
	s_and_b32 s82, s82, 0xffffff                               // 0000000089C8: 8652FF52 00FFFFFF
	s_mul_i32 s82, s82, s71                                    // 0000000089D0: 92524752
	s_mul_i32 s61, s60, s61                                    // 0000000089D4: 923D3D3C
	s_add_u32 s82, s82, s61                                    // 0000000089D8: 80523D52
	v_mul_lo_u32 v7, v4, s82                                   // 0000000089DC: D2850007 0000A504
	v_add_u32_e32 v46, v6, v7                                  // 0000000089E4: 685C0F06
	v_readlane_b32 s82, v3, 6                                  // 0000000089E8: D2890052 00010D03
	s_lshr_b32 s61, s82, 24                                    // 0000000089F0: 8F3D9852
	s_and_b32 s82, s82, 0xffffff                               // 0000000089F4: 8652FF52 00FFFFFF
	s_mul_i32 s82, s82, s71                                    // 0000000089FC: 92524752
	s_mul_i32 s61, s60, s61                                    // 000000008A00: 923D3D3C
	s_add_u32 s82, s82, s61                                    // 000000008A04: 80523D52
	v_mul_lo_u32 v6, v5, s82                                   // 000000008A08: D2850006 0000A505
	v_readlane_b32 s82, v3, 7                                  // 000000008A10: D2890052 00010F03
	s_lshr_b32 s61, s82, 24                                    // 000000008A18: 8F3D9852
	s_and_b32 s82, s82, 0xffffff                               // 000000008A1C: 8652FF52 00FFFFFF
	s_mul_i32 s82, s82, s71                                    // 000000008A24: 92524752
	s_mul_i32 s61, s60, s61                                    // 000000008A28: 923D3D3C
	s_add_u32 s82, s82, s61                                    // 000000008A2C: 80523D52
	v_mul_lo_u32 v7, v4, s82                                   // 000000008A30: D2850007 0000A504
	v_add_u32_e32 v47, v6, v7                                  // 000000008A38: 685E0F06
	v_readlane_b32 s82, v3, 8                                  // 000000008A3C: D2890052 00011103
	s_lshr_b32 s61, s82, 24                                    // 000000008A44: 8F3D9852
	s_and_b32 s82, s82, 0xffffff                               // 000000008A48: 8652FF52 00FFFFFF
	s_mul_i32 s82, s82, s71                                    // 000000008A50: 92524752
	s_mul_i32 s61, s60, s61                                    // 000000008A54: 923D3D3C
	s_add_u32 s82, s82, s61                                    // 000000008A58: 80523D52
	v_mul_lo_u32 v6, v5, s82                                   // 000000008A5C: D2850006 0000A505
	v_readlane_b32 s82, v3, 9                                  // 000000008A64: D2890052 00011303
	s_lshr_b32 s61, s82, 24                                    // 000000008A6C: 8F3D9852
	s_and_b32 s82, s82, 0xffffff                               // 000000008A70: 8652FF52 00FFFFFF
	s_mul_i32 s82, s82, s71                                    // 000000008A78: 92524752
	s_mul_i32 s61, s60, s61                                    // 000000008A7C: 923D3D3C
	s_add_u32 s82, s82, s61                                    // 000000008A80: 80523D52
	v_mul_lo_u32 v7, v4, s82                                   // 000000008A84: D2850007 0000A504
	v_add_u32_e32 v48, v6, v7                                  // 000000008A8C: 68600F06
	v_readlane_b32 s82, v3, 10                                 // 000000008A90: D2890052 00011503
	s_lshr_b32 s61, s82, 24                                    // 000000008A98: 8F3D9852
	s_and_b32 s82, s82, 0xffffff                               // 000000008A9C: 8652FF52 00FFFFFF
	s_mul_i32 s82, s82, s71                                    // 000000008AA4: 92524752
	s_mul_i32 s61, s60, s61                                    // 000000008AA8: 923D3D3C
	s_add_u32 s82, s82, s61                                    // 000000008AAC: 80523D52
	v_mul_lo_u32 v6, v5, s82                                   // 000000008AB0: D2850006 0000A505
	v_readlane_b32 s82, v3, 11                                 // 000000008AB8: D2890052 00011703
	s_lshr_b32 s61, s82, 24                                    // 000000008AC0: 8F3D9852
	s_and_b32 s82, s82, 0xffffff                               // 000000008AC4: 8652FF52 00FFFFFF
	s_mul_i32 s82, s82, s71                                    // 000000008ACC: 92524752
	s_mul_i32 s61, s60, s61                                    // 000000008AD0: 923D3D3C
	s_add_u32 s82, s82, s61                                    // 000000008AD4: 80523D52
	v_mul_lo_u32 v7, v4, s82                                   // 000000008AD8: D2850007 0000A504
	v_add_u32_e32 v49, v6, v7                                  // 000000008AE0: 68620F06
	v_readlane_b32 s82, v3, 12                                 // 000000008AE4: D2890052 00011903
	s_lshr_b32 s61, s82, 24                                    // 000000008AEC: 8F3D9852
	s_and_b32 s82, s82, 0xffffff                               // 000000008AF0: 8652FF52 00FFFFFF
	s_mul_i32 s82, s82, s71                                    // 000000008AF8: 92524752
	s_mul_i32 s61, s60, s61                                    // 000000008AFC: 923D3D3C
	s_add_u32 s82, s82, s61                                    // 000000008B00: 80523D52
	v_mul_lo_u32 v6, v5, s82                                   // 000000008B04: D2850006 0000A505
	v_readlane_b32 s82, v3, 13                                 // 000000008B0C: D2890052 00011B03
	s_lshr_b32 s61, s82, 24                                    // 000000008B14: 8F3D9852
	s_and_b32 s82, s82, 0xffffff                               // 000000008B18: 8652FF52 00FFFFFF
	s_mul_i32 s82, s82, s71                                    // 000000008B20: 92524752
	s_mul_i32 s61, s60, s61                                    // 000000008B24: 923D3D3C
	s_add_u32 s82, s82, s61                                    // 000000008B28: 80523D52
	v_mul_lo_u32 v7, v4, s82                                   // 000000008B2C: D2850007 0000A504
	v_add_u32_e32 v50, v6, v7                                  // 000000008B34: 68640F06
	v_readlane_b32 s82, v3, 14                                 // 000000008B38: D2890052 00011D03
	s_lshr_b32 s61, s82, 24                                    // 000000008B40: 8F3D9852
	s_and_b32 s82, s82, 0xffffff                               // 000000008B44: 8652FF52 00FFFFFF
	s_mul_i32 s82, s82, s71                                    // 000000008B4C: 92524752
	s_mul_i32 s61, s60, s61                                    // 000000008B50: 923D3D3C
	s_add_u32 s82, s82, s61                                    // 000000008B54: 80523D52
	v_mul_lo_u32 v6, v5, s82                                   // 000000008B58: D2850006 0000A505
	v_readlane_b32 s82, v3, 15                                 // 000000008B60: D2890052 00011F03
	s_lshr_b32 s61, s82, 24                                    // 000000008B68: 8F3D9852
	s_and_b32 s82, s82, 0xffffff                               // 000000008B6C: 8652FF52 00FFFFFF
	s_mul_i32 s82, s82, s71                                    // 000000008B74: 92524752
	s_mul_i32 s61, s60, s61                                    // 000000008B78: 923D3D3C
	s_add_u32 s82, s82, s61                                    // 000000008B7C: 80523D52
	v_mul_lo_u32 v7, v4, s82                                   // 000000008B80: D2850007 0000A504
	v_add_u32_e32 v51, v6, v7                                  // 000000008B88: 68660F06
	v_and_b32_e32 v4, 31, v0                                   // 000000008B8C: 2608009F
	v_lshrrev_b32_e32 v4, 1, v4                                // 000000008B90: 20080881
	s_cmp_eq_u32 s88, 0                                        // 000000008B94: BF068058
	s_cselect_b32 s61, 2, 4                                    // 000000008B98: 853D8482
	v_mul_lo_u32 v4, v4, s61                                   // 000000008B9C: D2850004 00007B04
	v_and_b32_e64 v5, v0, 1                                    // 000000008BA4: D1130005 00010300
	v_add_u32_e32 v4, v4, v5                                   // 000000008BAC: 68080B04
	v_lshlrev_b32_e32 v4, 2, v4                                // 000000008BB0: 24080882
	v_add_u32_e32 v44, v44, v4                                 // 000000008BB4: 6858092C
	v_add_u32_e32 v45, v45, v4                                 // 000000008BB8: 685A092D
	v_add_u32_e32 v46, v46, v4                                 // 000000008BBC: 685C092E
	v_add_u32_e32 v47, v47, v4                                 // 000000008BC0: 685E092F
	v_add_u32_e32 v48, v48, v4                                 // 000000008BC4: 68600930
	v_add_u32_e32 v49, v49, v4                                 // 000000008BC8: 68620931
	v_add_u32_e32 v50, v50, v4                                 // 000000008BCC: 68640932
	v_add_u32_e32 v51, v51, v4                                 // 000000008BD0: 68660933
	s_waitcnt lgkmcnt(0)                                       // 000000008BD4: BF8CC07F
	s_barrier                                                  // 000000008BD8: BF8A0000
	ds_read_b32 v56, v21                                       // 000000008BDC: D86C0000 38000015
	ds_read_b32 v57, v21 offset:64                             // 000000008BE4: D86C0040 39000015
	ds_read_b32 v60, v21 offset:2176                           // 000000008BEC: D86C0880 3C000015
	ds_read_b32 v61, v21 offset:2240                           // 000000008BF4: D86C08C0 3D000015
	ds_read_b32 v64, v21 offset:4352                           // 000000008BFC: D86C1100 40000015
	ds_read_b32 v65, v21 offset:4416                           // 000000008C04: D86C1140 41000015
	ds_read_b32 v68, v21 offset:6528                           // 000000008C0C: D86C1980 44000015
	ds_read_b32 v69, v21 offset:6592                           // 000000008C14: D86C19C0 45000015
	ds_read_b32 v72, v21 offset:8704                           // 000000008C1C: D86C2200 48000015
	ds_read_b32 v73, v21 offset:8768                           // 000000008C24: D86C2240 49000015
	ds_read_b32 v76, v21 offset:10880                          // 000000008C2C: D86C2A80 4C000015
	ds_read_b32 v77, v21 offset:10944                          // 000000008C34: D86C2AC0 4D000015
	ds_read_b32 v80, v21 offset:13056                          // 000000008C3C: D86C3300 50000015
	ds_read_b32 v81, v21 offset:13120                          // 000000008C44: D86C3340 51000015
	ds_read_b32 v84, v21 offset:15232                          // 000000008C4C: D86C3B80 54000015
	ds_read_b32 v85, v21 offset:15296                          // 000000008C54: D86C3BC0 55000015
	s_waitcnt lgkmcnt(0)                                       // 000000008C5C: BF8CC07F
	s_mov_b32 s36, -1                                          // 000000008C60: BEA400C1
	s_mov_b32 s37, -1                                          // 000000008C64: BEA500C1
	v_mov_b32_e32 v7, 0                                        // 000000008C68: 7E0E0280
	s_mov_b64 exec, s[36:37]                                   // 000000008C6C: BEFE0124
	v_mov_b32_e32 v6, v44                                      // 000000008C70: 7E0C032C
	s_mov_b64 s[60:61], 0                                      // 000000008C74: BEBC0180
	v_readlane_b32 s82, v3, 0                                  // 000000008C78: D2890052 00010103
	s_and_b32 s82, s82, 0xffffff                               // 000000008C80: 8652FF52 00FFFFFF
	s_cmp_lt_u32 s82, s66                                      // 000000008C88: BF0A4252
	s_cselect_b32 s20, s36, s60                                // 000000008C8C: 85143C24
	v_readlane_b32 s82, v3, 1                                  // 000000008C90: D2890052 00010303
	s_and_b32 s82, s82, 0xffffff                               // 000000008C98: 8652FF52 00FFFFFF
	s_cmp_lt_u32 s82, s66                                      // 000000008CA0: BF0A4252
	s_cselect_b32 s21, s36, s60                                // 000000008CA4: 85153C24
	s_mov_b64 exec, s[20:21]                                   // 000000008CA8: BEFE0114
	global_atomic_add_f32 v6, v56, s[8:9]                      // 000000008CAC: DD348000 00083806
	global_atomic_add_f32 v6, v60, s[8:9] offset:256           // 000000008CB4: DD348100 00083C06
	s_mov_b64 exec, s[36:37]                                   // 000000008CBC: BEFE0124
	v_mov_b32_e32 v6, v45                                      // 000000008CC0: 7E0C032D
	s_mov_b64 s[60:61], 0                                      // 000000008CC4: BEBC0180
	v_readlane_b32 s82, v3, 2                                  // 000000008CC8: D2890052 00010503
	s_and_b32 s82, s82, 0xffffff                               // 000000008CD0: 8652FF52 00FFFFFF
	s_cmp_lt_u32 s82, s66                                      // 000000008CD8: BF0A4252
	s_cselect_b32 s20, s36, s60                                // 000000008CDC: 85143C24
	v_readlane_b32 s82, v3, 3                                  // 000000008CE0: D2890052 00010703
	s_and_b32 s82, s82, 0xffffff                               // 000000008CE8: 8652FF52 00FFFFFF
	s_cmp_lt_u32 s82, s66                                      // 000000008CF0: BF0A4252
	s_cselect_b32 s21, s36, s60                                // 000000008CF4: 85153C24
	s_mov_b64 exec, s[20:21]                                   // 000000008CF8: BEFE0114
	global_atomic_add_f32 v6, v57, s[8:9]                      // 000000008CFC: DD348000 00083906
	global_atomic_add_f32 v6, v61, s[8:9] offset:256           // 000000008D04: DD348100 00083D06
	s_mov_b64 exec, s[36:37]                                   // 000000008D0C: BEFE0124
	v_mov_b32_e32 v6, v46                                      // 000000008D10: 7E0C032E
	s_mov_b64 s[60:61], 0                                      // 000000008D14: BEBC0180
	v_readlane_b32 s82, v3, 4                                  // 000000008D18: D2890052 00010903
	s_and_b32 s82, s82, 0xffffff                               // 000000008D20: 8652FF52 00FFFFFF
	s_cmp_lt_u32 s82, s66                                      // 000000008D28: BF0A4252
	s_cselect_b32 s20, s36, s60                                // 000000008D2C: 85143C24
	v_readlane_b32 s82, v3, 5                                  // 000000008D30: D2890052 00010B03
	s_and_b32 s82, s82, 0xffffff                               // 000000008D38: 8652FF52 00FFFFFF
	s_cmp_lt_u32 s82, s66                                      // 000000008D40: BF0A4252
	s_cselect_b32 s21, s36, s60                                // 000000008D44: 85153C24
	s_mov_b64 exec, s[20:21]                                   // 000000008D48: BEFE0114
	global_atomic_add_f32 v6, v64, s[8:9]                      // 000000008D4C: DD348000 00084006
	global_atomic_add_f32 v6, v68, s[8:9] offset:256           // 000000008D54: DD348100 00084406
	s_mov_b64 exec, s[36:37]                                   // 000000008D5C: BEFE0124
	v_mov_b32_e32 v6, v47                                      // 000000008D60: 7E0C032F
	s_mov_b64 s[60:61], 0                                      // 000000008D64: BEBC0180
	v_readlane_b32 s82, v3, 6                                  // 000000008D68: D2890052 00010D03
	s_and_b32 s82, s82, 0xffffff                               // 000000008D70: 8652FF52 00FFFFFF
	s_cmp_lt_u32 s82, s66                                      // 000000008D78: BF0A4252
	s_cselect_b32 s20, s36, s60                                // 000000008D7C: 85143C24
	v_readlane_b32 s82, v3, 7                                  // 000000008D80: D2890052 00010F03
	s_and_b32 s82, s82, 0xffffff                               // 000000008D88: 8652FF52 00FFFFFF
	s_cmp_lt_u32 s82, s66                                      // 000000008D90: BF0A4252
	s_cselect_b32 s21, s36, s60                                // 000000008D94: 85153C24
	s_mov_b64 exec, s[20:21]                                   // 000000008D98: BEFE0114
	global_atomic_add_f32 v6, v65, s[8:9]                      // 000000008D9C: DD348000 00084106
	global_atomic_add_f32 v6, v69, s[8:9] offset:256           // 000000008DA4: DD348100 00084506
	s_mov_b64 exec, s[36:37]                                   // 000000008DAC: BEFE0124
	v_mov_b32_e32 v6, v48                                      // 000000008DB0: 7E0C0330
	s_mov_b64 s[60:61], 0                                      // 000000008DB4: BEBC0180
	v_readlane_b32 s82, v3, 8                                  // 000000008DB8: D2890052 00011103
	s_and_b32 s82, s82, 0xffffff                               // 000000008DC0: 8652FF52 00FFFFFF
	s_cmp_lt_u32 s82, s66                                      // 000000008DC8: BF0A4252
	s_cselect_b32 s20, s36, s60                                // 000000008DCC: 85143C24
	v_readlane_b32 s82, v3, 9                                  // 000000008DD0: D2890052 00011303
	s_and_b32 s82, s82, 0xffffff                               // 000000008DD8: 8652FF52 00FFFFFF
	s_cmp_lt_u32 s82, s66                                      // 000000008DE0: BF0A4252
	s_cselect_b32 s21, s36, s60                                // 000000008DE4: 85153C24
	s_mov_b64 exec, s[20:21]                                   // 000000008DE8: BEFE0114
	global_atomic_add_f32 v6, v72, s[8:9]                      // 000000008DEC: DD348000 00084806
	global_atomic_add_f32 v6, v76, s[8:9] offset:256           // 000000008DF4: DD348100 00084C06
	s_mov_b64 exec, s[36:37]                                   // 000000008DFC: BEFE0124
	v_mov_b32_e32 v6, v49                                      // 000000008E00: 7E0C0331
	s_mov_b64 s[60:61], 0                                      // 000000008E04: BEBC0180
	v_readlane_b32 s82, v3, 10                                 // 000000008E08: D2890052 00011503
	s_and_b32 s82, s82, 0xffffff                               // 000000008E10: 8652FF52 00FFFFFF
	s_cmp_lt_u32 s82, s66                                      // 000000008E18: BF0A4252
	s_cselect_b32 s20, s36, s60                                // 000000008E1C: 85143C24
	v_readlane_b32 s82, v3, 11                                 // 000000008E20: D2890052 00011703
	s_and_b32 s82, s82, 0xffffff                               // 000000008E28: 8652FF52 00FFFFFF
	s_cmp_lt_u32 s82, s66                                      // 000000008E30: BF0A4252
	s_cselect_b32 s21, s36, s60                                // 000000008E34: 85153C24
	s_mov_b64 exec, s[20:21]                                   // 000000008E38: BEFE0114
	global_atomic_add_f32 v6, v73, s[8:9]                      // 000000008E3C: DD348000 00084906
	global_atomic_add_f32 v6, v77, s[8:9] offset:256           // 000000008E44: DD348100 00084D06
	s_mov_b64 exec, s[36:37]                                   // 000000008E4C: BEFE0124
	v_mov_b32_e32 v6, v50                                      // 000000008E50: 7E0C0332
	s_mov_b64 s[60:61], 0                                      // 000000008E54: BEBC0180
	v_readlane_b32 s82, v3, 12                                 // 000000008E58: D2890052 00011903
	s_and_b32 s82, s82, 0xffffff                               // 000000008E60: 8652FF52 00FFFFFF
	s_cmp_lt_u32 s82, s66                                      // 000000008E68: BF0A4252
	s_cselect_b32 s20, s36, s60                                // 000000008E6C: 85143C24
	v_readlane_b32 s82, v3, 13                                 // 000000008E70: D2890052 00011B03
	s_and_b32 s82, s82, 0xffffff                               // 000000008E78: 8652FF52 00FFFFFF
	s_cmp_lt_u32 s82, s66                                      // 000000008E80: BF0A4252
	s_cselect_b32 s21, s36, s60                                // 000000008E84: 85153C24
	s_mov_b64 exec, s[20:21]                                   // 000000008E88: BEFE0114
	global_atomic_add_f32 v6, v80, s[8:9]                      // 000000008E8C: DD348000 00085006
	global_atomic_add_f32 v6, v84, s[8:9] offset:256           // 000000008E94: DD348100 00085406
	s_mov_b64 exec, s[36:37]                                   // 000000008E9C: BEFE0124
	v_mov_b32_e32 v6, v51                                      // 000000008EA0: 7E0C0333
	s_mov_b64 s[60:61], 0                                      // 000000008EA4: BEBC0180
	v_readlane_b32 s82, v3, 14                                 // 000000008EA8: D2890052 00011D03
	s_and_b32 s82, s82, 0xffffff                               // 000000008EB0: 8652FF52 00FFFFFF
	s_cmp_lt_u32 s82, s66                                      // 000000008EB8: BF0A4252
	s_cselect_b32 s20, s36, s60                                // 000000008EBC: 85143C24
	v_readlane_b32 s82, v3, 15                                 // 000000008EC0: D2890052 00011F03
	s_and_b32 s82, s82, 0xffffff                               // 000000008EC8: 8652FF52 00FFFFFF
	s_cmp_lt_u32 s82, s66                                      // 000000008ED0: BF0A4252
	s_cselect_b32 s21, s36, s60                                // 000000008ED4: 85153C24
	s_mov_b64 exec, s[20:21]                                   // 000000008ED8: BEFE0114
	global_atomic_add_f32 v6, v81, s[8:9]                      // 000000008EDC: DD348000 00085106
	global_atomic_add_f32 v6, v85, s[8:9] offset:256           // 000000008EE4: DD348100 00085506
	s_mov_b64 exec, s[36:37]                                   // 000000008EEC: BEFE0124
	ds_write_b64 v20, v[58:59]                                 // 000000008EF0: D89A0000 00003A14
	ds_write_b64 v20, v[62:63] offset:4352                     // 000000008EF8: D89A1100 00003E14
	ds_write_b64 v20, v[66:67] offset:8704                     // 000000008F00: D89A2200 00004214
	ds_write_b64 v20, v[70:71] offset:13056                    // 000000008F08: D89A3300 00004614
	ds_write_b64 v20, v[74:75] offset:2176                     // 000000008F10: D89A0880 00004A14
	ds_write_b64 v20, v[78:79] offset:6528                     // 000000008F18: D89A1980 00004E14
	ds_write_b64 v20, v[82:83] offset:10880                    // 000000008F20: D89A2A80 00005214
	ds_write_b64 v20, v[86:87] offset:15232                    // 000000008F28: D89A3B80 00005614
	s_waitcnt lgkmcnt(0)                                       // 000000008F30: BF8CC07F
	s_barrier                                                  // 000000008F34: BF8A0000
	ds_read_b32 v58, v21                                       // 000000008F38: D86C0000 3A000015
	ds_read_b32 v59, v21 offset:64                             // 000000008F40: D86C0040 3B000015
	ds_read_b32 v62, v21 offset:2176                           // 000000008F48: D86C0880 3E000015
	ds_read_b32 v63, v21 offset:2240                           // 000000008F50: D86C08C0 3F000015
	ds_read_b32 v66, v21 offset:4352                           // 000000008F58: D86C1100 42000015
	ds_read_b32 v67, v21 offset:4416                           // 000000008F60: D86C1140 43000015
	ds_read_b32 v70, v21 offset:6528                           // 000000008F68: D86C1980 46000015
	ds_read_b32 v71, v21 offset:6592                           // 000000008F70: D86C19C0 47000015
	ds_read_b32 v74, v21 offset:8704                           // 000000008F78: D86C2200 4A000015
	ds_read_b32 v75, v21 offset:8768                           // 000000008F80: D86C2240 4B000015
	ds_read_b32 v78, v21 offset:10880                          // 000000008F88: D86C2A80 4E000015
	ds_read_b32 v79, v21 offset:10944                          // 000000008F90: D86C2AC0 4F000015
	ds_read_b32 v82, v21 offset:13056                          // 000000008F98: D86C3300 52000015
	ds_read_b32 v83, v21 offset:13120                          // 000000008FA0: D86C3340 53000015
	ds_read_b32 v86, v21 offset:15232                          // 000000008FA8: D86C3B80 56000015
	ds_read_b32 v87, v21 offset:15296                          // 000000008FB0: D86C3BC0 57000015
	s_waitcnt lgkmcnt(0)                                       // 000000008FB8: BF8CC07F
	v_mov_b32_e32 v7, 0                                        // 000000008FBC: 7E0E0280
	s_mov_b64 exec, s[36:37]                                   // 000000008FC0: BEFE0124
	v_mov_b32_e32 v6, v44                                      // 000000008FC4: 7E0C032C
	s_mov_b64 s[60:61], 0                                      // 000000008FC8: BEBC0180
	v_readlane_b32 s82, v3, 0                                  // 000000008FCC: D2890052 00010103
	s_and_b32 s82, s82, 0xffffff                               // 000000008FD4: 8652FF52 00FFFFFF
	s_cmp_lt_u32 s82, s66                                      // 000000008FDC: BF0A4252
	s_cselect_b32 s20, s36, s60                                // 000000008FE0: 85143C24
	v_readlane_b32 s82, v3, 1                                  // 000000008FE4: D2890052 00010303
	s_and_b32 s82, s82, 0xffffff                               // 000000008FEC: 8652FF52 00FFFFFF
	s_cmp_lt_u32 s82, s66                                      // 000000008FF4: BF0A4252
	s_cselect_b32 s21, s36, s60                                // 000000008FF8: 85153C24
	s_mov_b64 exec, s[20:21]                                   // 000000008FFC: BEFE0114
	global_atomic_add_f32 v6, v58, s[8:9] offset:8             // 000000009000: DD348008 00083A06
	global_atomic_add_f32 v6, v62, s[8:9] offset:264           // 000000009008: DD348108 00083E06
	s_mov_b64 exec, s[36:37]                                   // 000000009010: BEFE0124
	v_mov_b32_e32 v6, v45                                      // 000000009014: 7E0C032D
	s_mov_b64 s[60:61], 0                                      // 000000009018: BEBC0180
	v_readlane_b32 s82, v3, 2                                  // 00000000901C: D2890052 00010503
	s_and_b32 s82, s82, 0xffffff                               // 000000009024: 8652FF52 00FFFFFF
	s_cmp_lt_u32 s82, s66                                      // 00000000902C: BF0A4252
	s_cselect_b32 s20, s36, s60                                // 000000009030: 85143C24
	v_readlane_b32 s82, v3, 3                                  // 000000009034: D2890052 00010703
	s_and_b32 s82, s82, 0xffffff                               // 00000000903C: 8652FF52 00FFFFFF
	s_cmp_lt_u32 s82, s66                                      // 000000009044: BF0A4252
	s_cselect_b32 s21, s36, s60                                // 000000009048: 85153C24
	s_mov_b64 exec, s[20:21]                                   // 00000000904C: BEFE0114
	global_atomic_add_f32 v6, v59, s[8:9] offset:8             // 000000009050: DD348008 00083B06
	global_atomic_add_f32 v6, v63, s[8:9] offset:264           // 000000009058: DD348108 00083F06
	s_mov_b64 exec, s[36:37]                                   // 000000009060: BEFE0124
	v_mov_b32_e32 v6, v46                                      // 000000009064: 7E0C032E
	s_mov_b64 s[60:61], 0                                      // 000000009068: BEBC0180
	v_readlane_b32 s82, v3, 4                                  // 00000000906C: D2890052 00010903
	s_and_b32 s82, s82, 0xffffff                               // 000000009074: 8652FF52 00FFFFFF
	s_cmp_lt_u32 s82, s66                                      // 00000000907C: BF0A4252
	s_cselect_b32 s20, s36, s60                                // 000000009080: 85143C24
	v_readlane_b32 s82, v3, 5                                  // 000000009084: D2890052 00010B03
	s_and_b32 s82, s82, 0xffffff                               // 00000000908C: 8652FF52 00FFFFFF
	s_cmp_lt_u32 s82, s66                                      // 000000009094: BF0A4252
	s_cselect_b32 s21, s36, s60                                // 000000009098: 85153C24
	s_mov_b64 exec, s[20:21]                                   // 00000000909C: BEFE0114
	global_atomic_add_f32 v6, v66, s[8:9] offset:8             // 0000000090A0: DD348008 00084206
	global_atomic_add_f32 v6, v70, s[8:9] offset:264           // 0000000090A8: DD348108 00084606
	s_mov_b64 exec, s[36:37]                                   // 0000000090B0: BEFE0124
	v_mov_b32_e32 v6, v47                                      // 0000000090B4: 7E0C032F
	s_mov_b64 s[60:61], 0                                      // 0000000090B8: BEBC0180
	v_readlane_b32 s82, v3, 6                                  // 0000000090BC: D2890052 00010D03
	s_and_b32 s82, s82, 0xffffff                               // 0000000090C4: 8652FF52 00FFFFFF
	s_cmp_lt_u32 s82, s66                                      // 0000000090CC: BF0A4252
	s_cselect_b32 s20, s36, s60                                // 0000000090D0: 85143C24
	v_readlane_b32 s82, v3, 7                                  // 0000000090D4: D2890052 00010F03
	s_and_b32 s82, s82, 0xffffff                               // 0000000090DC: 8652FF52 00FFFFFF
	s_cmp_lt_u32 s82, s66                                      // 0000000090E4: BF0A4252
	s_cselect_b32 s21, s36, s60                                // 0000000090E8: 85153C24
	s_mov_b64 exec, s[20:21]                                   // 0000000090EC: BEFE0114
	global_atomic_add_f32 v6, v67, s[8:9] offset:8             // 0000000090F0: DD348008 00084306
	global_atomic_add_f32 v6, v71, s[8:9] offset:264           // 0000000090F8: DD348108 00084706
	s_mov_b64 exec, s[36:37]                                   // 000000009100: BEFE0124
	v_mov_b32_e32 v6, v48                                      // 000000009104: 7E0C0330
	s_mov_b64 s[60:61], 0                                      // 000000009108: BEBC0180
	v_readlane_b32 s82, v3, 8                                  // 00000000910C: D2890052 00011103
	s_and_b32 s82, s82, 0xffffff                               // 000000009114: 8652FF52 00FFFFFF
	s_cmp_lt_u32 s82, s66                                      // 00000000911C: BF0A4252
	s_cselect_b32 s20, s36, s60                                // 000000009120: 85143C24
	v_readlane_b32 s82, v3, 9                                  // 000000009124: D2890052 00011303
	s_and_b32 s82, s82, 0xffffff                               // 00000000912C: 8652FF52 00FFFFFF
	s_cmp_lt_u32 s82, s66                                      // 000000009134: BF0A4252
	s_cselect_b32 s21, s36, s60                                // 000000009138: 85153C24
	s_mov_b64 exec, s[20:21]                                   // 00000000913C: BEFE0114
	global_atomic_add_f32 v6, v74, s[8:9] offset:8             // 000000009140: DD348008 00084A06
	global_atomic_add_f32 v6, v78, s[8:9] offset:264           // 000000009148: DD348108 00084E06
	s_mov_b64 exec, s[36:37]                                   // 000000009150: BEFE0124
	v_mov_b32_e32 v6, v49                                      // 000000009154: 7E0C0331
	s_mov_b64 s[60:61], 0                                      // 000000009158: BEBC0180
	v_readlane_b32 s82, v3, 10                                 // 00000000915C: D2890052 00011503
	s_and_b32 s82, s82, 0xffffff                               // 000000009164: 8652FF52 00FFFFFF
	s_cmp_lt_u32 s82, s66                                      // 00000000916C: BF0A4252
	s_cselect_b32 s20, s36, s60                                // 000000009170: 85143C24
	v_readlane_b32 s82, v3, 11                                 // 000000009174: D2890052 00011703
	s_and_b32 s82, s82, 0xffffff                               // 00000000917C: 8652FF52 00FFFFFF
	s_cmp_lt_u32 s82, s66                                      // 000000009184: BF0A4252
	s_cselect_b32 s21, s36, s60                                // 000000009188: 85153C24
	s_mov_b64 exec, s[20:21]                                   // 00000000918C: BEFE0114
	global_atomic_add_f32 v6, v75, s[8:9] offset:8             // 000000009190: DD348008 00084B06
	global_atomic_add_f32 v6, v79, s[8:9] offset:264           // 000000009198: DD348108 00084F06
	s_mov_b64 exec, s[36:37]                                   // 0000000091A0: BEFE0124
	v_mov_b32_e32 v6, v50                                      // 0000000091A4: 7E0C0332
	s_mov_b64 s[60:61], 0                                      // 0000000091A8: BEBC0180
	v_readlane_b32 s82, v3, 12                                 // 0000000091AC: D2890052 00011903
	s_and_b32 s82, s82, 0xffffff                               // 0000000091B4: 8652FF52 00FFFFFF
	s_cmp_lt_u32 s82, s66                                      // 0000000091BC: BF0A4252
	s_cselect_b32 s20, s36, s60                                // 0000000091C0: 85143C24
	v_readlane_b32 s82, v3, 13                                 // 0000000091C4: D2890052 00011B03
	s_and_b32 s82, s82, 0xffffff                               // 0000000091CC: 8652FF52 00FFFFFF
	s_cmp_lt_u32 s82, s66                                      // 0000000091D4: BF0A4252
	s_cselect_b32 s21, s36, s60                                // 0000000091D8: 85153C24
	s_mov_b64 exec, s[20:21]                                   // 0000000091DC: BEFE0114
	global_atomic_add_f32 v6, v82, s[8:9] offset:8             // 0000000091E0: DD348008 00085206
	global_atomic_add_f32 v6, v86, s[8:9] offset:264           // 0000000091E8: DD348108 00085606
	s_mov_b64 exec, s[36:37]                                   // 0000000091F0: BEFE0124
	v_mov_b32_e32 v6, v51                                      // 0000000091F4: 7E0C0333
	s_mov_b64 s[60:61], 0                                      // 0000000091F8: BEBC0180
	v_readlane_b32 s82, v3, 14                                 // 0000000091FC: D2890052 00011D03
	s_and_b32 s82, s82, 0xffffff                               // 000000009204: 8652FF52 00FFFFFF
	s_cmp_lt_u32 s82, s66                                      // 00000000920C: BF0A4252
	s_cselect_b32 s20, s36, s60                                // 000000009210: 85143C24
	v_readlane_b32 s82, v3, 15                                 // 000000009214: D2890052 00011F03
	s_and_b32 s82, s82, 0xffffff                               // 00000000921C: 8652FF52 00FFFFFF
	s_cmp_lt_u32 s82, s66                                      // 000000009224: BF0A4252
	s_cselect_b32 s21, s36, s60                                // 000000009228: 85153C24
	s_mov_b64 exec, s[20:21]                                   // 00000000922C: BEFE0114
	global_atomic_add_f32 v6, v83, s[8:9] offset:8             // 000000009230: DD348008 00085306
	global_atomic_add_f32 v6, v87, s[8:9] offset:264           // 000000009238: DD348108 00085706
	s_mov_b64 exec, s[36:37]                                   // 000000009240: BEFE0124
	ds_write_b64 v20, v[88:89]                                 // 000000009244: D89A0000 00005814
	ds_write_b64 v20, v[92:93] offset:4352                     // 00000000924C: D89A1100 00005C14
	ds_write_b64 v20, v[96:97] offset:8704                     // 000000009254: D89A2200 00006014
	ds_write_b64 v20, v[100:101] offset:13056                  // 00000000925C: D89A3300 00006414
	ds_write_b64 v20, v[104:105] offset:2176                   // 000000009264: D89A0880 00006814
	ds_write_b64 v20, v[108:109] offset:6528                   // 00000000926C: D89A1980 00006C14
	ds_write_b64 v20, v[112:113] offset:10880                  // 000000009274: D89A2A80 00007014
	ds_write_b64 v20, v[116:117] offset:15232                  // 00000000927C: D89A3B80 00007414
	s_waitcnt lgkmcnt(0)                                       // 000000009284: BF8CC07F
	s_barrier                                                  // 000000009288: BF8A0000
	ds_read_b32 v88, v21                                       // 00000000928C: D86C0000 58000015
	ds_read_b32 v89, v21 offset:64                             // 000000009294: D86C0040 59000015
	ds_read_b32 v92, v21 offset:2176                           // 00000000929C: D86C0880 5C000015
	ds_read_b32 v93, v21 offset:2240                           // 0000000092A4: D86C08C0 5D000015
	ds_read_b32 v96, v21 offset:4352                           // 0000000092AC: D86C1100 60000015
	ds_read_b32 v97, v21 offset:4416                           // 0000000092B4: D86C1140 61000015
	ds_read_b32 v100, v21 offset:6528                          // 0000000092BC: D86C1980 64000015
	ds_read_b32 v101, v21 offset:6592                          // 0000000092C4: D86C19C0 65000015
	ds_read_b32 v104, v21 offset:8704                          // 0000000092CC: D86C2200 68000015
	ds_read_b32 v105, v21 offset:8768                          // 0000000092D4: D86C2240 69000015
	ds_read_b32 v108, v21 offset:10880                         // 0000000092DC: D86C2A80 6C000015
	ds_read_b32 v109, v21 offset:10944                         // 0000000092E4: D86C2AC0 6D000015
	ds_read_b32 v112, v21 offset:13056                         // 0000000092EC: D86C3300 70000015
	ds_read_b32 v113, v21 offset:13120                         // 0000000092F4: D86C3340 71000015
	ds_read_b32 v116, v21 offset:15232                         // 0000000092FC: D86C3B80 74000015
	ds_read_b32 v117, v21 offset:15296                         // 000000009304: D86C3BC0 75000015
	s_mul_i32 s60, s65, 4                                      // 00000000930C: 923C8441
	s_add_u32 s8, s60, s8                                      // 000000009310: 8008083C
	s_addc_u32 s9, 0, s9                                       // 000000009314: 82090980
	s_waitcnt lgkmcnt(0)                                       // 000000009318: BF8CC07F
	v_mov_b32_e32 v7, 0                                        // 00000000931C: 7E0E0280
	s_mov_b64 exec, s[36:37]                                   // 000000009320: BEFE0124
	v_mov_b32_e32 v6, v44                                      // 000000009324: 7E0C032C
	s_mov_b64 s[60:61], 0                                      // 000000009328: BEBC0180
	v_readlane_b32 s82, v3, 0                                  // 00000000932C: D2890052 00010103
	s_and_b32 s82, s82, 0xffffff                               // 000000009334: 8652FF52 00FFFFFF
	s_cmp_lt_u32 s82, s66                                      // 00000000933C: BF0A4252
	s_cselect_b32 s20, s36, s60                                // 000000009340: 85143C24
	v_readlane_b32 s82, v3, 1                                  // 000000009344: D2890052 00010303
	s_and_b32 s82, s82, 0xffffff                               // 00000000934C: 8652FF52 00FFFFFF
	s_cmp_lt_u32 s82, s66                                      // 000000009354: BF0A4252
	s_cselect_b32 s21, s36, s60                                // 000000009358: 85153C24
	s_mov_b64 exec, s[20:21]                                   // 00000000935C: BEFE0114
	global_atomic_add_f32 v6, v88, s[8:9]                      // 000000009360: DD348000 00085806
	global_atomic_add_f32 v6, v92, s[8:9] offset:256           // 000000009368: DD348100 00085C06
	s_mov_b64 exec, s[36:37]                                   // 000000009370: BEFE0124
	v_mov_b32_e32 v6, v45                                      // 000000009374: 7E0C032D
	s_mov_b64 s[60:61], 0                                      // 000000009378: BEBC0180
	v_readlane_b32 s82, v3, 2                                  // 00000000937C: D2890052 00010503
	s_and_b32 s82, s82, 0xffffff                               // 000000009384: 8652FF52 00FFFFFF
	s_cmp_lt_u32 s82, s66                                      // 00000000938C: BF0A4252
	s_cselect_b32 s20, s36, s60                                // 000000009390: 85143C24
	v_readlane_b32 s82, v3, 3                                  // 000000009394: D2890052 00010703
	s_and_b32 s82, s82, 0xffffff                               // 00000000939C: 8652FF52 00FFFFFF
	s_cmp_lt_u32 s82, s66                                      // 0000000093A4: BF0A4252
	s_cselect_b32 s21, s36, s60                                // 0000000093A8: 85153C24
	s_mov_b64 exec, s[20:21]                                   // 0000000093AC: BEFE0114
	global_atomic_add_f32 v6, v89, s[8:9]                      // 0000000093B0: DD348000 00085906
	global_atomic_add_f32 v6, v93, s[8:9] offset:256           // 0000000093B8: DD348100 00085D06
	s_mov_b64 exec, s[36:37]                                   // 0000000093C0: BEFE0124
	v_mov_b32_e32 v6, v46                                      // 0000000093C4: 7E0C032E
	s_mov_b64 s[60:61], 0                                      // 0000000093C8: BEBC0180
	v_readlane_b32 s82, v3, 4                                  // 0000000093CC: D2890052 00010903
	s_and_b32 s82, s82, 0xffffff                               // 0000000093D4: 8652FF52 00FFFFFF
	s_cmp_lt_u32 s82, s66                                      // 0000000093DC: BF0A4252
	s_cselect_b32 s20, s36, s60                                // 0000000093E0: 85143C24
	v_readlane_b32 s82, v3, 5                                  // 0000000093E4: D2890052 00010B03
	s_and_b32 s82, s82, 0xffffff                               // 0000000093EC: 8652FF52 00FFFFFF
	s_cmp_lt_u32 s82, s66                                      // 0000000093F4: BF0A4252
	s_cselect_b32 s21, s36, s60                                // 0000000093F8: 85153C24
	s_mov_b64 exec, s[20:21]                                   // 0000000093FC: BEFE0114
	global_atomic_add_f32 v6, v96, s[8:9]                      // 000000009400: DD348000 00086006
	global_atomic_add_f32 v6, v100, s[8:9] offset:256          // 000000009408: DD348100 00086406
	s_mov_b64 exec, s[36:37]                                   // 000000009410: BEFE0124
	v_mov_b32_e32 v6, v47                                      // 000000009414: 7E0C032F
	s_mov_b64 s[60:61], 0                                      // 000000009418: BEBC0180
	v_readlane_b32 s82, v3, 6                                  // 00000000941C: D2890052 00010D03
	s_and_b32 s82, s82, 0xffffff                               // 000000009424: 8652FF52 00FFFFFF
	s_cmp_lt_u32 s82, s66                                      // 00000000942C: BF0A4252
	s_cselect_b32 s20, s36, s60                                // 000000009430: 85143C24
	v_readlane_b32 s82, v3, 7                                  // 000000009434: D2890052 00010F03
	s_and_b32 s82, s82, 0xffffff                               // 00000000943C: 8652FF52 00FFFFFF
	s_cmp_lt_u32 s82, s66                                      // 000000009444: BF0A4252
	s_cselect_b32 s21, s36, s60                                // 000000009448: 85153C24
	s_mov_b64 exec, s[20:21]                                   // 00000000944C: BEFE0114
	global_atomic_add_f32 v6, v97, s[8:9]                      // 000000009450: DD348000 00086106
	global_atomic_add_f32 v6, v101, s[8:9] offset:256          // 000000009458: DD348100 00086506
	s_mov_b64 exec, s[36:37]                                   // 000000009460: BEFE0124
	v_mov_b32_e32 v6, v48                                      // 000000009464: 7E0C0330
	s_mov_b64 s[60:61], 0                                      // 000000009468: BEBC0180
	v_readlane_b32 s82, v3, 8                                  // 00000000946C: D2890052 00011103
	s_and_b32 s82, s82, 0xffffff                               // 000000009474: 8652FF52 00FFFFFF
	s_cmp_lt_u32 s82, s66                                      // 00000000947C: BF0A4252
	s_cselect_b32 s20, s36, s60                                // 000000009480: 85143C24
	v_readlane_b32 s82, v3, 9                                  // 000000009484: D2890052 00011303
	s_and_b32 s82, s82, 0xffffff                               // 00000000948C: 8652FF52 00FFFFFF
	s_cmp_lt_u32 s82, s66                                      // 000000009494: BF0A4252
	s_cselect_b32 s21, s36, s60                                // 000000009498: 85153C24
	s_mov_b64 exec, s[20:21]                                   // 00000000949C: BEFE0114
	global_atomic_add_f32 v6, v104, s[8:9]                     // 0000000094A0: DD348000 00086806
	global_atomic_add_f32 v6, v108, s[8:9] offset:256          // 0000000094A8: DD348100 00086C06
	s_mov_b64 exec, s[36:37]                                   // 0000000094B0: BEFE0124
	v_mov_b32_e32 v6, v49                                      // 0000000094B4: 7E0C0331
	s_mov_b64 s[60:61], 0                                      // 0000000094B8: BEBC0180
	v_readlane_b32 s82, v3, 10                                 // 0000000094BC: D2890052 00011503
	s_and_b32 s82, s82, 0xffffff                               // 0000000094C4: 8652FF52 00FFFFFF
	s_cmp_lt_u32 s82, s66                                      // 0000000094CC: BF0A4252
	s_cselect_b32 s20, s36, s60                                // 0000000094D0: 85143C24
	v_readlane_b32 s82, v3, 11                                 // 0000000094D4: D2890052 00011703
	s_and_b32 s82, s82, 0xffffff                               // 0000000094DC: 8652FF52 00FFFFFF
	s_cmp_lt_u32 s82, s66                                      // 0000000094E4: BF0A4252
	s_cselect_b32 s21, s36, s60                                // 0000000094E8: 85153C24
	s_mov_b64 exec, s[20:21]                                   // 0000000094EC: BEFE0114
	global_atomic_add_f32 v6, v105, s[8:9]                     // 0000000094F0: DD348000 00086906
	global_atomic_add_f32 v6, v109, s[8:9] offset:256          // 0000000094F8: DD348100 00086D06
	s_mov_b64 exec, s[36:37]                                   // 000000009500: BEFE0124
	v_mov_b32_e32 v6, v50                                      // 000000009504: 7E0C0332
	s_mov_b64 s[60:61], 0                                      // 000000009508: BEBC0180
	v_readlane_b32 s82, v3, 12                                 // 00000000950C: D2890052 00011903
	s_and_b32 s82, s82, 0xffffff                               // 000000009514: 8652FF52 00FFFFFF
	s_cmp_lt_u32 s82, s66                                      // 00000000951C: BF0A4252
	s_cselect_b32 s20, s36, s60                                // 000000009520: 85143C24
	v_readlane_b32 s82, v3, 13                                 // 000000009524: D2890052 00011B03
	s_and_b32 s82, s82, 0xffffff                               // 00000000952C: 8652FF52 00FFFFFF
	s_cmp_lt_u32 s82, s66                                      // 000000009534: BF0A4252
	s_cselect_b32 s21, s36, s60                                // 000000009538: 85153C24
	s_mov_b64 exec, s[20:21]                                   // 00000000953C: BEFE0114
	global_atomic_add_f32 v6, v112, s[8:9]                     // 000000009540: DD348000 00087006
	global_atomic_add_f32 v6, v116, s[8:9] offset:256          // 000000009548: DD348100 00087406
	s_mov_b64 exec, s[36:37]                                   // 000000009550: BEFE0124
	v_mov_b32_e32 v6, v51                                      // 000000009554: 7E0C0333
	s_mov_b64 s[60:61], 0                                      // 000000009558: BEBC0180
	v_readlane_b32 s82, v3, 14                                 // 00000000955C: D2890052 00011D03
	s_and_b32 s82, s82, 0xffffff                               // 000000009564: 8652FF52 00FFFFFF
	s_cmp_lt_u32 s82, s66                                      // 00000000956C: BF0A4252
	s_cselect_b32 s20, s36, s60                                // 000000009570: 85143C24
	v_readlane_b32 s82, v3, 15                                 // 000000009574: D2890052 00011F03
	s_and_b32 s82, s82, 0xffffff                               // 00000000957C: 8652FF52 00FFFFFF
	s_cmp_lt_u32 s82, s66                                      // 000000009584: BF0A4252
	s_cselect_b32 s21, s36, s60                                // 000000009588: 85153C24
	s_mov_b64 exec, s[20:21]                                   // 00000000958C: BEFE0114
	global_atomic_add_f32 v6, v113, s[8:9]                     // 000000009590: DD348000 00087106
	global_atomic_add_f32 v6, v117, s[8:9] offset:256          // 000000009598: DD348100 00087506
	s_mov_b64 exec, s[36:37]                                   // 0000000095A0: BEFE0124
	ds_write_b64 v20, v[90:91]                                 // 0000000095A4: D89A0000 00005A14
	ds_write_b64 v20, v[94:95] offset:4352                     // 0000000095AC: D89A1100 00005E14
	ds_write_b64 v20, v[98:99] offset:8704                     // 0000000095B4: D89A2200 00006214
	ds_write_b64 v20, v[102:103] offset:13056                  // 0000000095BC: D89A3300 00006614
	ds_write_b64 v20, v[106:107] offset:2176                   // 0000000095C4: D89A0880 00006A14
	ds_write_b64 v20, v[110:111] offset:6528                   // 0000000095CC: D89A1980 00006E14
	ds_write_b64 v20, v[114:115] offset:10880                  // 0000000095D4: D89A2A80 00007214
	ds_write_b64 v20, v[118:119] offset:15232                  // 0000000095DC: D89A3B80 00007614
	s_waitcnt lgkmcnt(0)                                       // 0000000095E4: BF8CC07F
	s_barrier                                                  // 0000000095E8: BF8A0000
	ds_read_b32 v90, v21                                       // 0000000095EC: D86C0000 5A000015
	ds_read_b32 v91, v21 offset:64                             // 0000000095F4: D86C0040 5B000015
	ds_read_b32 v94, v21 offset:2176                           // 0000000095FC: D86C0880 5E000015
	ds_read_b32 v95, v21 offset:2240                           // 000000009604: D86C08C0 5F000015
	ds_read_b32 v98, v21 offset:4352                           // 00000000960C: D86C1100 62000015
	ds_read_b32 v99, v21 offset:4416                           // 000000009614: D86C1140 63000015
	ds_read_b32 v102, v21 offset:6528                          // 00000000961C: D86C1980 66000015
	ds_read_b32 v103, v21 offset:6592                          // 000000009624: D86C19C0 67000015
	ds_read_b32 v106, v21 offset:8704                          // 00000000962C: D86C2200 6A000015
	ds_read_b32 v107, v21 offset:8768                          // 000000009634: D86C2240 6B000015
	ds_read_b32 v110, v21 offset:10880                         // 00000000963C: D86C2A80 6E000015
	ds_read_b32 v111, v21 offset:10944                         // 000000009644: D86C2AC0 6F000015
	ds_read_b32 v114, v21 offset:13056                         // 00000000964C: D86C3300 72000015
	ds_read_b32 v115, v21 offset:13120                         // 000000009654: D86C3340 73000015
	ds_read_b32 v118, v21 offset:15232                         // 00000000965C: D86C3B80 76000015
	ds_read_b32 v119, v21 offset:15296                         // 000000009664: D86C3BC0 77000015
	s_waitcnt lgkmcnt(0)                                       // 00000000966C: BF8CC07F
	v_mov_b32_e32 v7, 0                                        // 000000009670: 7E0E0280
	s_mov_b64 exec, s[36:37]                                   // 000000009674: BEFE0124
	v_mov_b32_e32 v6, v44                                      // 000000009678: 7E0C032C
	s_mov_b64 s[60:61], 0                                      // 00000000967C: BEBC0180
	v_readlane_b32 s82, v3, 0                                  // 000000009680: D2890052 00010103
	s_and_b32 s82, s82, 0xffffff                               // 000000009688: 8652FF52 00FFFFFF
	s_cmp_lt_u32 s82, s66                                      // 000000009690: BF0A4252
	s_cselect_b32 s20, s36, s60                                // 000000009694: 85143C24
	v_readlane_b32 s82, v3, 1                                  // 000000009698: D2890052 00010303
	s_and_b32 s82, s82, 0xffffff                               // 0000000096A0: 8652FF52 00FFFFFF
	s_cmp_lt_u32 s82, s66                                      // 0000000096A8: BF0A4252
	s_cselect_b32 s21, s36, s60                                // 0000000096AC: 85153C24
	s_mov_b64 exec, s[20:21]                                   // 0000000096B0: BEFE0114
	global_atomic_add_f32 v6, v90, s[8:9] offset:8             // 0000000096B4: DD348008 00085A06
	global_atomic_add_f32 v6, v94, s[8:9] offset:264           // 0000000096BC: DD348108 00085E06
	s_mov_b64 exec, s[36:37]                                   // 0000000096C4: BEFE0124
	v_mov_b32_e32 v6, v45                                      // 0000000096C8: 7E0C032D
	s_mov_b64 s[60:61], 0                                      // 0000000096CC: BEBC0180
	v_readlane_b32 s82, v3, 2                                  // 0000000096D0: D2890052 00010503
	s_and_b32 s82, s82, 0xffffff                               // 0000000096D8: 8652FF52 00FFFFFF
	s_cmp_lt_u32 s82, s66                                      // 0000000096E0: BF0A4252
	s_cselect_b32 s20, s36, s60                                // 0000000096E4: 85143C24
	v_readlane_b32 s82, v3, 3                                  // 0000000096E8: D2890052 00010703
	s_and_b32 s82, s82, 0xffffff                               // 0000000096F0: 8652FF52 00FFFFFF
	s_cmp_lt_u32 s82, s66                                      // 0000000096F8: BF0A4252
	s_cselect_b32 s21, s36, s60                                // 0000000096FC: 85153C24
	s_mov_b64 exec, s[20:21]                                   // 000000009700: BEFE0114
	global_atomic_add_f32 v6, v91, s[8:9] offset:8             // 000000009704: DD348008 00085B06
	global_atomic_add_f32 v6, v95, s[8:9] offset:264           // 00000000970C: DD348108 00085F06
	s_mov_b64 exec, s[36:37]                                   // 000000009714: BEFE0124
	v_mov_b32_e32 v6, v46                                      // 000000009718: 7E0C032E
	s_mov_b64 s[60:61], 0                                      // 00000000971C: BEBC0180
	v_readlane_b32 s82, v3, 4                                  // 000000009720: D2890052 00010903
	s_and_b32 s82, s82, 0xffffff                               // 000000009728: 8652FF52 00FFFFFF
	s_cmp_lt_u32 s82, s66                                      // 000000009730: BF0A4252
	s_cselect_b32 s20, s36, s60                                // 000000009734: 85143C24
	v_readlane_b32 s82, v3, 5                                  // 000000009738: D2890052 00010B03
	s_and_b32 s82, s82, 0xffffff                               // 000000009740: 8652FF52 00FFFFFF
	s_cmp_lt_u32 s82, s66                                      // 000000009748: BF0A4252
	s_cselect_b32 s21, s36, s60                                // 00000000974C: 85153C24
	s_mov_b64 exec, s[20:21]                                   // 000000009750: BEFE0114
	global_atomic_add_f32 v6, v98, s[8:9] offset:8             // 000000009754: DD348008 00086206
	global_atomic_add_f32 v6, v102, s[8:9] offset:264          // 00000000975C: DD348108 00086606
	s_mov_b64 exec, s[36:37]                                   // 000000009764: BEFE0124
	v_mov_b32_e32 v6, v47                                      // 000000009768: 7E0C032F
	s_mov_b64 s[60:61], 0                                      // 00000000976C: BEBC0180
	v_readlane_b32 s82, v3, 6                                  // 000000009770: D2890052 00010D03
	s_and_b32 s82, s82, 0xffffff                               // 000000009778: 8652FF52 00FFFFFF
	s_cmp_lt_u32 s82, s66                                      // 000000009780: BF0A4252
	s_cselect_b32 s20, s36, s60                                // 000000009784: 85143C24
	v_readlane_b32 s82, v3, 7                                  // 000000009788: D2890052 00010F03
	s_and_b32 s82, s82, 0xffffff                               // 000000009790: 8652FF52 00FFFFFF
	s_cmp_lt_u32 s82, s66                                      // 000000009798: BF0A4252
	s_cselect_b32 s21, s36, s60                                // 00000000979C: 85153C24
	s_mov_b64 exec, s[20:21]                                   // 0000000097A0: BEFE0114
	global_atomic_add_f32 v6, v99, s[8:9] offset:8             // 0000000097A4: DD348008 00086306
	global_atomic_add_f32 v6, v103, s[8:9] offset:264          // 0000000097AC: DD348108 00086706
	s_mov_b64 exec, s[36:37]                                   // 0000000097B4: BEFE0124
	v_mov_b32_e32 v6, v48                                      // 0000000097B8: 7E0C0330
	s_mov_b64 s[60:61], 0                                      // 0000000097BC: BEBC0180
	v_readlane_b32 s82, v3, 8                                  // 0000000097C0: D2890052 00011103
	s_and_b32 s82, s82, 0xffffff                               // 0000000097C8: 8652FF52 00FFFFFF
	s_cmp_lt_u32 s82, s66                                      // 0000000097D0: BF0A4252
	s_cselect_b32 s20, s36, s60                                // 0000000097D4: 85143C24
	v_readlane_b32 s82, v3, 9                                  // 0000000097D8: D2890052 00011303
	s_and_b32 s82, s82, 0xffffff                               // 0000000097E0: 8652FF52 00FFFFFF
	s_cmp_lt_u32 s82, s66                                      // 0000000097E8: BF0A4252
	s_cselect_b32 s21, s36, s60                                // 0000000097EC: 85153C24
	s_mov_b64 exec, s[20:21]                                   // 0000000097F0: BEFE0114
	global_atomic_add_f32 v6, v106, s[8:9] offset:8            // 0000000097F4: DD348008 00086A06
	global_atomic_add_f32 v6, v110, s[8:9] offset:264          // 0000000097FC: DD348108 00086E06
	s_mov_b64 exec, s[36:37]                                   // 000000009804: BEFE0124
	v_mov_b32_e32 v6, v49                                      // 000000009808: 7E0C0331
	s_mov_b64 s[60:61], 0                                      // 00000000980C: BEBC0180
	v_readlane_b32 s82, v3, 10                                 // 000000009810: D2890052 00011503
	s_and_b32 s82, s82, 0xffffff                               // 000000009818: 8652FF52 00FFFFFF
	s_cmp_lt_u32 s82, s66                                      // 000000009820: BF0A4252
	s_cselect_b32 s20, s36, s60                                // 000000009824: 85143C24
	v_readlane_b32 s82, v3, 11                                 // 000000009828: D2890052 00011703
	s_and_b32 s82, s82, 0xffffff                               // 000000009830: 8652FF52 00FFFFFF
	s_cmp_lt_u32 s82, s66                                      // 000000009838: BF0A4252
	s_cselect_b32 s21, s36, s60                                // 00000000983C: 85153C24
	s_mov_b64 exec, s[20:21]                                   // 000000009840: BEFE0114
	global_atomic_add_f32 v6, v107, s[8:9] offset:8            // 000000009844: DD348008 00086B06
	global_atomic_add_f32 v6, v111, s[8:9] offset:264          // 00000000984C: DD348108 00086F06
	s_mov_b64 exec, s[36:37]                                   // 000000009854: BEFE0124
	v_mov_b32_e32 v6, v50                                      // 000000009858: 7E0C0332
	s_mov_b64 s[60:61], 0                                      // 00000000985C: BEBC0180
	v_readlane_b32 s82, v3, 12                                 // 000000009860: D2890052 00011903
	s_and_b32 s82, s82, 0xffffff                               // 000000009868: 8652FF52 00FFFFFF
	s_cmp_lt_u32 s82, s66                                      // 000000009870: BF0A4252
	s_cselect_b32 s20, s36, s60                                // 000000009874: 85143C24
	v_readlane_b32 s82, v3, 13                                 // 000000009878: D2890052 00011B03
	s_and_b32 s82, s82, 0xffffff                               // 000000009880: 8652FF52 00FFFFFF
	s_cmp_lt_u32 s82, s66                                      // 000000009888: BF0A4252
	s_cselect_b32 s21, s36, s60                                // 00000000988C: 85153C24
	s_mov_b64 exec, s[20:21]                                   // 000000009890: BEFE0114
	global_atomic_add_f32 v6, v114, s[8:9] offset:8            // 000000009894: DD348008 00087206
	global_atomic_add_f32 v6, v118, s[8:9] offset:264          // 00000000989C: DD348108 00087606
	s_mov_b64 exec, s[36:37]                                   // 0000000098A4: BEFE0124
	v_mov_b32_e32 v6, v51                                      // 0000000098A8: 7E0C0333
	s_mov_b64 s[60:61], 0                                      // 0000000098AC: BEBC0180
	v_readlane_b32 s82, v3, 14                                 // 0000000098B0: D2890052 00011D03
	s_and_b32 s82, s82, 0xffffff                               // 0000000098B8: 8652FF52 00FFFFFF
	s_cmp_lt_u32 s82, s66                                      // 0000000098C0: BF0A4252
	s_cselect_b32 s20, s36, s60                                // 0000000098C4: 85143C24
	v_readlane_b32 s82, v3, 15                                 // 0000000098C8: D2890052 00011F03
	s_and_b32 s82, s82, 0xffffff                               // 0000000098D0: 8652FF52 00FFFFFF
	s_cmp_lt_u32 s82, s66                                      // 0000000098D8: BF0A4252
	s_cselect_b32 s21, s36, s60                                // 0000000098DC: 85153C24
	s_mov_b64 exec, s[20:21]                                   // 0000000098E0: BEFE0114
	global_atomic_add_f32 v6, v115, s[8:9] offset:8            // 0000000098E4: DD348008 00087306
	global_atomic_add_f32 v6, v119, s[8:9] offset:264          // 0000000098EC: DD348108 00087706
	s_mov_b64 exec, s[36:37]                                   // 0000000098F4: BEFE0124
	s_branch label_1BC2                                        // 0000000098F8: BF820000

00000000000098fc <label_1BC2>:
	s_waitcnt vmcnt(0) expcnt(0) lgkmcnt(0)                    // 0000000098FC: BF8C0000
	s_endpgm                                                   // 000000009900: BF810000
